;; amdgpu-corpus repo=ROCm/rocFFT kind=compiled arch=gfx1201 opt=O3
	.text
	.amdgcn_target "amdgcn-amd-amdhsa--gfx1201"
	.amdhsa_code_object_version 6
	.protected	bluestein_single_fwd_len1445_dim1_sp_op_CI_CI ; -- Begin function bluestein_single_fwd_len1445_dim1_sp_op_CI_CI
	.globl	bluestein_single_fwd_len1445_dim1_sp_op_CI_CI
	.p2align	8
	.type	bluestein_single_fwd_len1445_dim1_sp_op_CI_CI,@function
bluestein_single_fwd_len1445_dim1_sp_op_CI_CI: ; @bluestein_single_fwd_len1445_dim1_sp_op_CI_CI
; %bb.0:
	s_load_b128 s[12:15], s[0:1], 0x28
	v_mul_u32_u24_e32 v1, 0x304, v0
	s_mov_b32 s2, exec_lo
	v_mov_b32_e32 v5, 0
	s_delay_alu instid0(VALU_DEP_2) | instskip(NEXT) | instid1(VALU_DEP_1)
	v_lshrrev_b32_e32 v1, 16, v1
	v_add_nc_u32_e32 v4, ttmp9, v1
	s_wait_kmcnt 0x0
	s_delay_alu instid0(VALU_DEP_1)
	v_cmpx_gt_u64_e64 s[12:13], v[4:5]
	s_cbranch_execz .LBB0_10
; %bb.1:
	s_clause 0x1
	s_load_b128 s[4:7], s[0:1], 0x18
	s_load_b128 s[8:11], s[0:1], 0x0
	v_mul_lo_u16 v1, 0x55, v1
	s_load_b64 s[0:1], s[0:1], 0x38
	v_mov_b32_e32 v5, v4
	s_delay_alu instid0(VALU_DEP_2) | instskip(SKIP_2) | instid1(VALU_DEP_1)
	v_sub_nc_u16 v66, v0, v1
	scratch_store_b64 off, v[5:6], off offset:32 ; 8-byte Folded Spill
	v_and_b32_e32 v92, 0xffff, v66
	v_lshlrev_b32_e32 v139, 3, v92
	s_wait_kmcnt 0x0
	s_load_b128 s[16:19], s[4:5], 0x0
	s_clause 0xe
	global_load_b64 v[123:124], v139, s[8:9]
	global_load_b64 v[125:126], v139, s[8:9] offset:680
	global_load_b64 v[117:118], v139, s[8:9] offset:1360
	;; [unrolled: 1-line block ×14, first 2 shown]
	v_add_nc_u32_e32 v48, 0x800, v139
	s_wait_kmcnt 0x0
	v_mad_co_u64_u32 v[0:1], null, s18, v4, 0
	v_mad_co_u64_u32 v[2:3], null, s16, v92, 0
	s_mul_u64 s[2:3], s[16:17], 0x2a8
	s_delay_alu instid0(VALU_DEP_1) | instskip(NEXT) | instid1(VALU_DEP_1)
	v_mad_co_u64_u32 v[4:5], null, s19, v4, v[1:2]
	v_mad_co_u64_u32 v[5:6], null, s17, v92, v[3:4]
	v_mov_b32_e32 v1, v4
	s_delay_alu instid0(VALU_DEP_1) | instskip(NEXT) | instid1(VALU_DEP_3)
	v_lshlrev_b64_e32 v[0:1], 3, v[0:1]
	v_mov_b32_e32 v3, v5
	s_delay_alu instid0(VALU_DEP_2) | instskip(NEXT) | instid1(VALU_DEP_2)
	v_add_co_u32 v0, vcc_lo, s14, v0
	v_lshlrev_b64_e32 v[2:3], 3, v[2:3]
	s_delay_alu instid0(VALU_DEP_4) | instskip(NEXT) | instid1(VALU_DEP_2)
	v_add_co_ci_u32_e32 v1, vcc_lo, s15, v1, vcc_lo
	v_add_co_u32 v0, vcc_lo, v0, v2
	s_wait_alu 0xfffd
	s_delay_alu instid0(VALU_DEP_2) | instskip(NEXT) | instid1(VALU_DEP_2)
	v_add_co_ci_u32_e32 v1, vcc_lo, v1, v3, vcc_lo
	v_add_co_u32 v2, vcc_lo, v0, s2
	s_wait_alu 0xfffd
	s_delay_alu instid0(VALU_DEP_2) | instskip(NEXT) | instid1(VALU_DEP_2)
	;; [unrolled: 4-line block ×4, first 2 shown]
	v_add_co_ci_u32_e32 v7, vcc_lo, s3, v5, vcc_lo
	v_add_co_u32 v8, vcc_lo, v6, s2
	s_wait_alu 0xfffd
	s_delay_alu instid0(VALU_DEP_2)
	v_add_co_ci_u32_e32 v9, vcc_lo, s3, v7, vcc_lo
	s_clause 0x3
	global_load_b64 v[0:1], v[0:1], off
	global_load_b64 v[2:3], v[2:3], off
	;; [unrolled: 1-line block ×4, first 2 shown]
	v_add_co_u32 v10, vcc_lo, v8, s2
	s_wait_alu 0xfffd
	v_add_co_ci_u32_e32 v11, vcc_lo, s3, v9, vcc_lo
	global_load_b64 v[12:13], v[8:9], off
	v_add_co_u32 v8, vcc_lo, v10, s2
	s_wait_alu 0xfffd
	v_add_co_ci_u32_e32 v9, vcc_lo, s3, v11, vcc_lo
	global_load_b64 v[10:11], v[10:11], off
	;; [unrolled: 4-line block ×11, first 2 shown]
	v_add_co_u32 v8, vcc_lo, v31, s2
	s_wait_alu 0xfffd
	v_add_co_ci_u32_e32 v9, vcc_lo, s3, v32, vcc_lo
	global_load_b64 v[105:106], v139, s[8:9] offset:10200
	global_load_b64 v[31:32], v[31:32], off
	global_load_b64 v[109:110], v139, s[8:9] offset:10880
	global_load_b64 v[35:36], v[8:9], off
	s_load_b128 s[4:7], s[6:7], 0x0
	v_cmp_gt_u16_e32 vcc_lo, 34, v66
	s_wait_loadcnt 0x15
	s_clause 0x1
	scratch_store_b64 off, v[43:44], off
	scratch_store_b64 off, v[51:52], off offset:16
	s_wait_loadcnt 0x14
	scratch_store_b64 off, v[53:54], off offset:24 ; 8-byte Folded Spill
	s_wait_loadcnt 0x13
	scratch_store_b64 off, v[45:46], off offset:8 ; 8-byte Folded Spill
	s_wait_loadcnt 0x12
	v_mul_f32_e32 v37, v1, v124
	v_mul_f32_e32 v9, v0, v124
	s_wait_loadcnt 0x11
	v_mul_f32_e32 v41, v3, v126
	s_wait_loadcnt 0x10
	v_dual_fmac_f32 v37, v0, v123 :: v_dual_mul_f32 v0, v5, v118
	v_add_nc_u32_e32 v40, 0x1000, v139
	v_add_nc_u32_e32 v20, 0x1800, v139
	;; [unrolled: 1-line block ×3, first 2 shown]
	v_fma_f32 v38, v1, v123, -v9
	v_dual_fmac_f32 v0, v4, v117 :: v_dual_mul_f32 v1, v2, v126
	v_fmac_f32_e32 v41, v2, v125
	v_mul_f32_e32 v9, v4, v118
	s_wait_loadcnt 0xf
	v_mul_f32_e32 v2, v7, v122
	s_wait_loadcnt 0xe
	v_dual_mul_f32 v4, v13, v116 :: v_dual_mul_f32 v39, v6, v122
	v_fma_f32 v42, v3, v125, -v1
	v_add_nc_u32_e32 v8, 0xc00, v139
	v_fmac_f32_e32 v2, v6, v121
	s_delay_alu instid0(VALU_DEP_4)
	v_fmac_f32_e32 v4, v12, v115
	v_fma_f32 v3, v7, v121, -v39
	s_wait_loadcnt 0xd
	v_mul_f32_e32 v6, v11, v120
	v_fma_f32 v1, v5, v117, -v9
	v_mul_f32_e32 v5, v12, v116
	ds_store_2addr_b64 v139, v[37:38], v[41:42] offset1:85
	v_add_nc_u32_e32 v50, 0x2000, v139
	v_fmac_f32_e32 v6, v10, v119
	ds_store_2addr_b64 v139, v[0:1], v[2:3] offset0:170 offset1:255
	s_wait_loadcnt 0xc
	v_dual_mul_f32 v1, v10, v120 :: v_dual_mul_f32 v0, v17, v114
	s_wait_loadcnt 0xb
	v_dual_mul_f32 v3, v16, v114 :: v_dual_mul_f32 v2, v15, v108
	v_mul_f32_e32 v9, v14, v108
	v_fma_f32 v5, v13, v115, -v5
	v_fmac_f32_e32 v0, v16, v113
	v_fma_f32 v7, v11, v119, -v1
	v_fma_f32 v1, v17, v113, -v3
	v_fmac_f32_e32 v2, v14, v107
	v_fma_f32 v3, v15, v107, -v9
	s_wait_loadcnt 0xa
	v_mul_f32_e32 v9, v22, v112
	v_mul_f32_e32 v10, v21, v112
	ds_store_2addr_b64 v48, v[4:5], v[6:7] offset0:84 offset1:169
	s_wait_loadcnt 0x7
	v_mul_f32_e32 v7, v23, v103
	ds_store_2addr_b64 v8, v[0:1], v[2:3] offset0:126 offset1:211
	v_mul_f32_e32 v0, v26, v101
	v_dual_mul_f32 v3, v25, v101 :: v_dual_mul_f32 v2, v24, v103
	v_dual_mul_f32 v4, v19, v52 :: v_dual_fmac_f32 v9, v21, v111
	v_mul_f32_e32 v1, v18, v52
	v_fma_f32 v10, v22, v111, -v10
	s_delay_alu instid0(VALU_DEP_4)
	v_fmac_f32_e32 v2, v23, v102
	s_wait_loadcnt 0x5
	v_dual_mul_f32 v11, v28, v54 :: v_dual_mul_f32 v6, v30, v44
	v_fmac_f32_e32 v4, v18, v51
	v_fma_f32 v5, v19, v51, -v1
	s_wait_loadcnt 0x4
	v_dual_fmac_f32 v0, v25, v100 :: v_dual_mul_f32 v13, v34, v46
	v_fma_f32 v1, v26, v100, -v3
	v_fma_f32 v3, v24, v102, -v7
	v_dual_mul_f32 v7, v29, v44 :: v_dual_mul_f32 v12, v27, v54
	s_delay_alu instid0(VALU_DEP_4)
	v_fmac_f32_e32 v13, v33, v45
	v_dual_fmac_f32 v11, v27, v53 :: v_dual_fmac_f32 v6, v29, v43
	s_wait_loadcnt 0x2
	v_mul_f32_e32 v15, v32, v106
	v_mul_f32_e32 v14, v33, v46
	;; [unrolled: 1-line block ×3, first 2 shown]
	s_wait_loadcnt 0x0
	v_mul_f32_e32 v17, v36, v110
	v_mul_f32_e32 v18, v35, v110
	v_fma_f32 v7, v30, v43, -v7
	v_fma_f32 v12, v28, v53, -v12
	v_fmac_f32_e32 v15, v31, v105
	v_fma_f32 v14, v34, v45, -v14
	v_fma_f32 v16, v32, v105, -v16
	v_fmac_f32_e32 v17, v35, v109
	v_fma_f32 v18, v36, v109, -v18
	ds_store_2addr_b64 v40, v[9:10], v[4:5] offset0:168 offset1:253
	ds_store_2addr_b64 v20, v[0:1], v[2:3] offset0:82 offset1:167
	;; [unrolled: 1-line block ×4, first 2 shown]
	ds_store_b64 v139, v[17:18] offset:10880
	global_wb scope:SCOPE_SE
	s_wait_storecnt_dscnt 0x0
	s_wait_kmcnt 0x0
	s_barrier_signal -1
	s_barrier_wait -1
	global_inv scope:SCOPE_SE
	ds_load_2addr_b64 v[12:15], v139 offset1:85
	ds_load_b64 v[32:33], v139 offset:10880
	ds_load_2addr_b64 v[24:27], v139 offset0:170 offset1:255
	ds_load_2addr_b64 v[4:7], v50 offset0:166 offset1:251
	;; [unrolled: 1-line block ×7, first 2 shown]
	global_wb scope:SCOPE_SE
	s_wait_dscnt 0x0
	s_barrier_signal -1
	s_barrier_wait -1
	global_inv scope:SCOPE_SE
	v_dual_add_f32 v34, v12, v14 :: v_dual_add_f32 v35, v13, v15
	v_dual_add_f32 v36, v32, v14 :: v_dual_add_f32 v37, v33, v15
	v_dual_sub_f32 v15, v15, v33 :: v_dual_sub_f32 v14, v14, v32
	v_dual_add_f32 v38, v6, v24 :: v_dual_add_f32 v39, v7, v25
	v_dual_sub_f32 v41, v24, v6 :: v_dual_sub_f32 v42, v25, v7
	v_dual_sub_f32 v45, v26, v4 :: v_dual_sub_f32 v46, v27, v5
	v_dual_add_f32 v47, v30, v0 :: v_dual_sub_f32 v52, v1, v31
	v_dual_add_f32 v51, v31, v1 :: v_dual_add_f32 v24, v34, v24
	v_dual_sub_f32 v53, v0, v30 :: v_dual_sub_f32 v54, v3, v29
	v_dual_add_f32 v25, v35, v25 :: v_dual_mul_f32 v34, 0xbeb8f4ab, v15
	v_dual_mul_f32 v35, 0xbeb8f4ab, v14 :: v_dual_mul_f32 v128, 0xbeb8f4ab, v45
	v_dual_mul_f32 v55, 0xbf2c7751, v15 :: v_dual_mul_f32 v56, 0xbf2c7751, v14
	;; [unrolled: 1-line block ×6, first 2 shown]
	v_mul_f32_e32 v65, 0xbf06c442, v15
	v_dual_mul_f32 v67, 0xbf06c442, v14 :: v_dual_mul_f32 v144, 0xbf06c442, v53
	v_dual_mul_f32 v15, 0xbe3c28d5, v15 :: v_dual_mul_f32 v14, 0xbe3c28d5, v14
	v_dual_add_f32 v43, v4, v26 :: v_dual_add_f32 v44, v5, v27
	v_dual_mul_f32 v68, 0xbf2c7751, v42 :: v_dual_mul_f32 v69, 0xbf2c7751, v41
	v_dual_mul_f32 v70, 0xbf7ee86f, v42 :: v_dual_mul_f32 v71, 0xbf7ee86f, v41
	;; [unrolled: 1-line block ×14, first 2 shown]
	v_dual_mul_f32 v45, 0xbf06c442, v45 :: v_dual_add_f32 v24, v24, v26
	v_dual_mul_f32 v131, 0xbf7ee86f, v52 :: v_dual_mul_f32 v132, 0xbf7ee86f, v53
	v_dual_mul_f32 v145, 0x3f4c4adb, v52 :: v_dual_mul_f32 v146, 0x3f4c4adb, v53
	v_add_f32_e32 v25, v25, v27
	v_fma_f32 v26, 0x3f6eb680, v36, -v34
	v_dual_fmac_f32 v34, 0x3f6eb680, v36 :: v_dual_fmamk_f32 v27, v37, 0x3f6eb680, v35
	v_fma_f32 v35, 0x3f6eb680, v37, -v35
	v_fma_f32 v147, 0x3f3d2fb0, v36, -v55
	v_dual_fmamk_f32 v148, v37, 0x3f3d2fb0, v56 :: v_dual_fmac_f32 v55, 0x3f3d2fb0, v36
	v_mul_f32_e32 v127, 0xbeb8f4ab, v46
	v_mul_f32_e32 v46, 0xbf06c442, v46
	v_fma_f32 v56, 0x3f3d2fb0, v37, -v56
	s_delay_alu instid0(VALU_DEP_4)
	v_add_f32_e32 v148, v13, v148
	v_fma_f32 v149, 0x3ee437d1, v36, -v57
	v_dual_fmamk_f32 v150, v37, 0x3ee437d1, v58 :: v_dual_fmac_f32 v57, 0x3ee437d1, v36
	v_fma_f32 v151, 0x3dbcf732, v36, -v59
	v_dual_fmamk_f32 v152, v37, 0x3dbcf732, v60 :: v_dual_fmac_f32 v59, 0x3dbcf732, v36
	v_fma_f32 v60, 0x3dbcf732, v37, -v60
	v_fma_f32 v153, 0xbe8c1d8e, v36, -v61
	v_dual_fmamk_f32 v154, v37, 0xbe8c1d8e, v62 :: v_dual_fmac_f32 v61, 0xbe8c1d8e, v36
	v_fmamk_f32 v160, v37, 0xbf7ba420, v14
	v_dual_mul_f32 v133, 0xbe3c28d5, v52 :: v_dual_mul_f32 v134, 0xbe3c28d5, v53
	v_dual_mul_f32 v135, 0x3f763a35, v52 :: v_dual_mul_f32 v136, 0x3f763a35, v53
	v_fma_f32 v58, 0x3ee437d1, v37, -v58
	v_fma_f32 v62, 0xbe8c1d8e, v37, -v62
	;; [unrolled: 1-line block ×3, first 2 shown]
	v_dual_fmamk_f32 v156, v37, 0xbf1a4643, v64 :: v_dual_fmac_f32 v63, 0xbf1a4643, v36
	v_fma_f32 v64, 0xbf1a4643, v37, -v64
	v_fma_f32 v157, 0xbf59a7d5, v36, -v65
	v_dual_fmamk_f32 v158, v37, 0xbf59a7d5, v67 :: v_dual_add_f32 v147, v12, v147
	v_fmac_f32_e32 v65, 0xbf59a7d5, v36
	v_fma_f32 v67, 0xbf59a7d5, v37, -v67
	v_fma_f32 v159, 0xbf7ba420, v36, -v15
	v_fmac_f32_e32 v15, 0xbf7ba420, v36
	v_fma_f32 v14, 0xbf7ba420, v37, -v14
	v_fma_f32 v36, 0x3f3d2fb0, v38, -v68
	v_dual_fmamk_f32 v37, v39, 0x3f3d2fb0, v69 :: v_dual_fmac_f32 v68, 0x3f3d2fb0, v38
	v_fma_f32 v69, 0x3f3d2fb0, v39, -v69
	v_fma_f32 v161, 0x3dbcf732, v38, -v70
	v_fmac_f32_e32 v70, 0x3dbcf732, v38
	v_fma_f32 v163, 0xbf1a4643, v38, -v72
	v_dual_fmamk_f32 v164, v39, 0xbf1a4643, v73 :: v_dual_add_f32 v35, v13, v35
	v_fmac_f32_e32 v72, 0xbf1a4643, v38
	v_fma_f32 v73, 0xbf1a4643, v39, -v73
	v_fma_f32 v165, 0xbf7ba420, v38, -v74
	v_dual_fmamk_f32 v166, v39, 0xbf7ba420, v75 :: v_dual_add_f32 v55, v12, v55
	v_fmac_f32_e32 v74, 0xbf7ba420, v38
	v_fma_f32 v75, 0xbf7ba420, v39, -v75
	;; [unrolled: 4-line block ×5, first 2 shown]
	v_fma_f32 v173, 0x3f6eb680, v38, -v42
	v_dual_fmamk_f32 v174, v39, 0x3f6eb680, v41 :: v_dual_add_f32 v59, v12, v59
	v_fmac_f32_e32 v42, 0x3f6eb680, v38
	v_dual_fmamk_f32 v162, v39, 0x3dbcf732, v71 :: v_dual_add_f32 v27, v13, v27
	v_fma_f32 v71, 0x3dbcf732, v39, -v71
	v_fma_f32 v38, 0x3f6eb680, v39, -v41
	v_fma_f32 v39, 0x3ee437d1, v43, -v82
	v_dual_fmac_f32 v82, 0x3ee437d1, v43 :: v_dual_add_f32 v153, v12, v153
	v_fma_f32 v175, 0xbf1a4643, v43, -v84
	v_dual_fmac_f32 v84, 0xbf1a4643, v43 :: v_dual_add_f32 v61, v12, v61
	v_fma_f32 v177, 0xbf7ba420, v43, -v86
	;; [unrolled: 2-line block ×3, first 2 shown]
	v_dual_fmamk_f32 v180, v44, 0xbe8c1d8e, v89 :: v_dual_add_f32 v1, v25, v1
	v_dual_fmac_f32 v88, 0xbe8c1d8e, v43 :: v_dual_add_f32 v65, v12, v65
	v_fma_f32 v181, 0x3f3d2fb0, v43, -v90
	v_fmac_f32_e32 v90, 0x3f3d2fb0, v43
	v_fma_f32 v183, 0x3f6eb680, v43, -v127
	v_dual_fmamk_f32 v184, v44, 0x3f6eb680, v128 :: v_dual_fmac_f32 v127, 0x3f6eb680, v43
	v_fma_f32 v185, 0x3dbcf732, v43, -v129
	v_fmac_f32_e32 v129, 0x3dbcf732, v43
	v_fma_f32 v187, 0xbf59a7d5, v43, -v46
	v_dual_fmamk_f32 v188, v44, 0xbf59a7d5, v45 :: v_dual_add_f32 v25, v69, v35
	v_fma_f32 v199, 0xbf1a4643, v47, -v145
	v_dual_fmac_f32 v145, 0xbf1a4643, v47 :: v_dual_add_f32 v34, v12, v34
	v_add_f32_e32 v150, v13, v150
	v_add_f32_e32 v56, v13, v56
	v_fmac_f32_e32 v46, 0xbf59a7d5, v43
	v_fma_f32 v43, 0xbf59a7d5, v44, -v45
	v_dual_fmamk_f32 v45, v51, 0x3dbcf732, v132 :: v_dual_add_f32 v60, v13, v60
	v_dual_add_f32 v61, v76, v61 :: v_dual_add_f32 v160, v13, v160
	v_dual_mul_f32 v143, 0xbf06c442, v52 :: v_dual_add_f32 v26, v12, v26
	v_fma_f32 v189, 0xbf7ba420, v47, -v133
	v_dual_fmac_f32 v133, 0xbf7ba420, v47 :: v_dual_add_f32 v58, v13, v58
	v_dual_add_f32 v59, v74, v59 :: v_dual_add_f32 v158, v13, v158
	v_add_f32_e32 v0, v24, v0
	v_dual_add_f32 v24, v68, v34 :: v_dual_add_f32 v1, v1, v3
	v_add_f32_e32 v60, v75, v60
	v_add_f32_e32 v75, v174, v160
	v_dual_add_f32 v156, v13, v156 :: v_dual_fmamk_f32 v41, v44, 0x3ee437d1, v83
	v_fma_f32 v83, 0x3ee437d1, v44, -v83
	v_dual_fmamk_f32 v176, v44, 0xbf1a4643, v85 :: v_dual_add_f32 v67, v13, v67
	v_fmamk_f32 v178, v44, 0xbf7ba420, v87
	v_fmamk_f32 v182, v44, 0x3f3d2fb0, v91
	v_dual_fmamk_f32 v190, v51, 0xbf7ba420, v134 :: v_dual_add_f32 v155, v12, v155
	v_fma_f32 v191, 0xbe8c1d8e, v47, -v135
	v_dual_fmamk_f32 v192, v51, 0xbe8c1d8e, v136 :: v_dual_add_f32 v63, v12, v63
	v_fmac_f32_e32 v135, 0xbe8c1d8e, v47
	v_dual_fmamk_f32 v200, v51, 0xbf1a4643, v146 :: v_dual_add_f32 v159, v12, v159
	s_delay_alu instid0(VALU_DEP_3)
	v_dual_add_f32 v62, v13, v62 :: v_dual_add_f32 v63, v78, v63
	v_dual_add_f32 v64, v13, v64 :: v_dual_add_f32 v65, v80, v65
	;; [unrolled: 1-line block ×3, first 2 shown]
	v_add_f32_e32 v15, v37, v27
	v_add_f32_e32 v27, v162, v148
	v_dual_add_f32 v34, v70, v55 :: v_dual_add_f32 v1, v1, v17
	v_add_f32_e32 v55, v72, v57
	v_add_f32_e32 v37, v164, v150
	v_dual_add_f32 v35, v71, v56 :: v_dual_add_f32 v56, v73, v58
	;; [unrolled: 3-line block ×4, first 2 shown]
	v_dual_add_f32 v26, v161, v147 :: v_dual_add_f32 v37, v178, v37
	v_add_f32_e32 v1, v1, v19
	v_fma_f32 v85, 0xbf1a4643, v44, -v85
	v_add_f32_e32 v69, v168, v154
	s_delay_alu instid0(VALU_DEP_4)
	v_add_f32_e32 v26, v175, v26
	v_add_f32_e32 v58, v166, v152
	;; [unrolled: 1-line block ×4, first 2 shown]
	v_dual_add_f32 v38, v86, v55 :: v_dual_add_f32 v1, v1, v9
	v_fma_f32 v87, 0xbf7ba420, v44, -v87
	v_fma_f32 v89, 0xbe8c1d8e, v44, -v89
	;; [unrolled: 1-line block ×4, first 2 shown]
	v_fmamk_f32 v186, v44, 0x3dbcf732, v130
	v_fma_f32 v130, 0x3dbcf732, v44, -v130
	v_fma_f32 v44, 0x3dbcf732, v47, -v131
	v_fmac_f32_e32 v131, 0x3dbcf732, v47
	v_add_f32_e32 v57, v165, v151
	v_add_f32_e32 v62, v77, v62
	v_dual_add_f32 v12, v42, v12 :: v_dual_add_f32 v63, v127, v63
	v_add_f32_e32 v0, v0, v2
	v_dual_add_f32 v42, v180, v58 :: v_dual_add_f32 v27, v190, v27
	v_dual_add_f32 v58, v182, v69 :: v_dual_add_f32 v1, v1, v11
	v_fma_f32 v134, 0xbf7ba420, v51, -v134
	v_dual_add_f32 v36, v163, v149 :: v_dual_add_f32 v15, v41, v15
	v_dual_add_f32 v70, v169, v155 :: v_dual_add_f32 v41, v179, v57
	v_add_f32_e32 v74, v173, v159
	v_dual_add_f32 v14, v39, v14 :: v_dual_add_f32 v65, v129, v65
	v_add_f32_e32 v39, v87, v56
	v_dual_add_f32 v55, v88, v59 :: v_dual_add_f32 v56, v89, v60
	v_dual_add_f32 v35, v134, v35 :: v_dual_add_f32 v60, v91, v62
	v_add_f32_e32 v37, v192, v37
	v_dual_add_f32 v62, v184, v71 :: v_dual_add_f32 v1, v1, v21
	;; [unrolled: 3-line block ×3, first 2 shown]
	v_add_f32_e32 v61, v183, v70
	v_dual_add_f32 v70, v187, v74 :: v_dual_add_f32 v1, v1, v23
	v_dual_add_f32 v0, v0, v18 :: v_dual_mul_f32 v137, 0x3eb8f4ab, v52
	v_mul_f32_e32 v138, 0x3eb8f4ab, v53
	v_dual_mul_f32 v141, 0xbf65296c, v52 :: v_dual_mul_f32 v142, 0xbf65296c, v53
	s_delay_alu instid0(VALU_DEP_3) | instskip(SKIP_4) | instid1(VALU_DEP_4)
	v_dual_add_f32 v1, v1, v29 :: v_dual_add_f32 v0, v0, v8
	v_fma_f32 v132, 0x3dbcf732, v51, -v132
	v_fma_f32 v197, 0xbf59a7d5, v47, -v143
	v_dual_add_f32 v68, v167, v153 :: v_dual_add_f32 v67, v130, v67
	v_add_f32_e32 v72, v171, v157
	v_dual_add_f32 v36, v177, v36 :: v_dual_add_f32 v25, v132, v25
	v_dual_add_f32 v1, v1, v31 :: v_dual_add_f32 v0, v0, v10
	v_add_f32_e32 v31, v197, v61
	v_fma_f32 v136, 0xbe8c1d8e, v51, -v136
	v_fma_f32 v193, 0x3f6eb680, v47, -v137
	v_dual_fmamk_f32 v194, v51, 0x3f6eb680, v138 :: v_dual_fmac_f32 v137, 0x3f6eb680, v47
	v_fma_f32 v138, 0x3f6eb680, v51, -v138
	v_fma_f32 v195, 0x3ee437d1, v47, -v141
	v_dual_fmamk_f32 v196, v51, 0x3ee437d1, v142 :: v_dual_fmac_f32 v141, 0x3ee437d1, v47
	v_dual_add_f32 v24, v82, v24 :: v_dual_add_f32 v71, v188, v75
	v_dual_add_f32 v34, v84, v34 :: v_dual_add_f32 v15, v45, v15
	v_add_f32_e32 v57, v181, v68
	v_dual_add_f32 v68, v185, v72 :: v_dual_add_f32 v39, v136, v39
	v_dual_add_f32 v36, v191, v36 :: v_dual_add_f32 v1, v1, v5
	v_add_f32_e32 v0, v0, v20
	v_dual_mul_f32 v52, 0x3f2c7751, v52 :: v_dual_mul_f32 v53, 0x3f2c7751, v53
	v_fma_f32 v146, 0xbf1a4643, v51, -v146
	v_dual_add_f32 v12, v46, v12 :: v_dual_add_f32 v43, v137, v55
	v_dual_add_f32 v14, v44, v14 :: v_dual_add_f32 v45, v195, v57
	;; [unrolled: 1-line block ×6, first 2 shown]
	v_sub_f32_e32 v2, v2, v28
	v_dual_fmamk_f32 v198, v51, 0xbf59a7d5, v144 :: v_dual_fmac_f32 v143, 0xbf59a7d5, v47
	v_fma_f32 v201, 0x3f3d2fb0, v47, -v52
	v_dual_add_f32 v64, v128, v64 :: v_dual_add_f32 v41, v193, v41
	v_dual_add_f32 v42, v194, v42 :: v_dual_add_f32 v1, v1, v33
	v_dual_fmamk_f32 v33, v51, 0x3f3d2fb0, v53 :: v_dual_add_f32 v0, v0, v28
	v_dual_add_f32 v3, v29, v3 :: v_dual_add_f32 v46, v196, v58
	v_add_f32_e32 v58, v146, v67
	v_fmac_f32_e32 v52, 0x3f3d2fb0, v47
	v_fma_f32 v28, 0x3f3d2fb0, v51, -v53
	v_mul_f32_e32 v47, 0xbf763a35, v2
	v_dual_add_f32 v38, v135, v38 :: v_dual_add_f32 v7, v145, v65
	s_delay_alu instid0(VALU_DEP_3) | instskip(NEXT) | instid1(VALU_DEP_3)
	v_dual_add_f32 v56, v198, v62 :: v_dual_add_f32 v13, v28, v13
	v_fmamk_f32 v28, v3, 0xbe8c1d8e, v47
	v_fma_f32 v47, 0xbe8c1d8e, v3, -v47
	v_add_f32_e32 v0, v0, v30
	v_fma_f32 v142, 0x3ee437d1, v51, -v142
	v_fma_f32 v144, 0xbf59a7d5, v51, -v144
	v_mul_f32_e32 v51, 0x3f06c442, v2
	s_delay_alu instid0(VALU_DEP_4) | instskip(SKIP_2) | instid1(VALU_DEP_4)
	v_dual_add_f32 v25, v47, v25 :: v_dual_add_f32 v0, v0, v4
	v_add_f32_e32 v12, v52, v12
	v_mul_f32_e32 v52, 0x3f2c7751, v54
	v_dual_fmamk_f32 v47, v3, 0xbf59a7d5, v51 :: v_dual_add_f32 v30, v142, v60
	s_delay_alu instid0(VALU_DEP_4) | instskip(SKIP_1) | instid1(VALU_DEP_3)
	v_add_f32_e32 v0, v0, v6
	v_dual_add_f32 v26, v189, v26 :: v_dual_add_f32 v5, v144, v64
	v_add_f32_e32 v27, v47, v27
	v_fma_f32 v47, 0x3f3d2fb0, v59, -v52
	s_delay_alu instid0(VALU_DEP_4) | instskip(SKIP_4) | instid1(VALU_DEP_4)
	v_add_f32_e32 v0, v0, v32
	v_mul_f32_e32 v60, 0xbf763a35, v54
	v_dual_add_f32 v32, v201, v70 :: v_dual_add_f32 v15, v28, v15
	v_fmac_f32_e32 v52, 0x3f3d2fb0, v59
	v_add_f32_e32 v33, v33, v71
	v_fma_f32 v29, 0xbe8c1d8e, v59, -v60
	v_add_co_u32 v64, s2, s8, v139
	s_wait_alu 0xf1ff
	v_add_co_ci_u32_e64 v65, null, s9, 0, s2
	s_delay_alu instid0(VALU_DEP_3) | instskip(SKIP_1) | instid1(VALU_DEP_1)
	v_add_f32_e32 v14, v29, v14
	v_dual_mul_f32 v29, 0x3f06c442, v54 :: v_dual_add_f32 v6, v200, v69
                                        ; implicit-def: $vgpr68
                                        ; implicit-def: $vgpr70
	v_fma_f32 v28, 0xbf59a7d5, v59, -v29
	s_delay_alu instid0(VALU_DEP_1) | instskip(SKIP_1) | instid1(VALU_DEP_2)
	v_dual_fmac_f32 v29, 0xbf59a7d5, v59 :: v_dual_add_f32 v26, v28, v26
	v_fma_f32 v28, 0xbf59a7d5, v3, -v51
	v_dual_add_f32 v29, v29, v34 :: v_dual_add_f32 v4, v143, v63
	v_mul_f32_e32 v51, 0x3f2c7751, v2
	v_mul_f32_e32 v34, 0xbf65296c, v54
	s_delay_alu instid0(VALU_DEP_4) | instskip(SKIP_1) | instid1(VALU_DEP_4)
	v_dual_add_f32 v28, v28, v35 :: v_dual_add_f32 v35, v47, v36
	v_mul_f32_e32 v53, 0xbf65296c, v2
	v_fmamk_f32 v36, v3, 0x3f3d2fb0, v51
	v_fma_f32 v47, 0x3f3d2fb0, v3, -v51
	v_fma_f32 v51, 0x3ee437d1, v59, -v34
	s_delay_alu instid0(VALU_DEP_3) | instskip(NEXT) | instid1(VALU_DEP_3)
	v_add_f32_e32 v36, v36, v37
	v_dual_add_f32 v37, v52, v38 :: v_dual_add_f32 v38, v47, v39
	s_delay_alu instid0(VALU_DEP_3)
	v_add_f32_e32 v39, v51, v41
	v_fmamk_f32 v41, v3, 0x3ee437d1, v53
	v_fmac_f32_e32 v60, 0xbe8c1d8e, v59
	v_mul_f32_e32 v47, 0xbe3c28d5, v54
	v_fma_f32 v51, 0x3ee437d1, v3, -v53
	v_mul_f32_e32 v52, 0xbe3c28d5, v2
	s_delay_alu instid0(VALU_DEP_4) | instskip(NEXT) | instid1(VALU_DEP_4)
	v_dual_add_f32 v41, v41, v42 :: v_dual_add_f32 v24, v60, v24
	v_fma_f32 v42, 0xbf7ba420, v59, -v47
	v_fmac_f32_e32 v47, 0xbf7ba420, v59
	s_delay_alu instid0(VALU_DEP_1) | instskip(SKIP_1) | instid1(VALU_DEP_1)
	v_add_f32_e32 v47, v47, v55
	v_fmac_f32_e32 v34, 0x3ee437d1, v59
	v_dual_mul_f32 v55, 0xbeb8f4ab, v2 :: v_dual_add_f32 v34, v34, v43
	v_add_f32_e32 v43, v51, v44
	v_dual_mul_f32 v51, 0x3f7ee86f, v54 :: v_dual_add_f32 v42, v42, v45
	v_fma_f32 v45, 0xbf7ba420, v3, -v52
	s_delay_alu instid0(VALU_DEP_1) | instskip(SKIP_1) | instid1(VALU_DEP_1)
	v_add_f32_e32 v30, v45, v30
	v_mul_f32_e32 v45, 0xbeb8f4ab, v54
	v_fma_f32 v53, 0x3f6eb680, v59, -v45
	v_fmac_f32_e32 v45, 0x3f6eb680, v59
	s_delay_alu instid0(VALU_DEP_1) | instskip(SKIP_2) | instid1(VALU_DEP_3)
	v_dual_add_f32 v7, v45, v7 :: v_dual_fmamk_f32 v44, v3, 0xbf7ba420, v52
	v_mul_f32_e32 v52, 0x3f7ee86f, v2
	v_mul_f32_e32 v2, 0xbf4c4adb, v2
	v_add_f32_e32 v44, v44, v46
	v_fma_f32 v46, 0x3dbcf732, v59, -v51
	v_fmac_f32_e32 v51, 0x3dbcf732, v59
	s_delay_alu instid0(VALU_DEP_2) | instskip(SKIP_1) | instid1(VALU_DEP_3)
	v_dual_add_f32 v31, v46, v31 :: v_dual_fmamk_f32 v46, v3, 0x3dbcf732, v52
	v_fma_f32 v52, 0x3dbcf732, v3, -v52
	v_dual_add_f32 v4, v51, v4 :: v_dual_add_f32 v51, v53, v57
	v_mul_f32_e32 v53, 0xbf4c4adb, v54
	v_fma_f32 v54, 0x3f6eb680, v3, -v55
	s_delay_alu instid0(VALU_DEP_4)
	v_dual_add_f32 v5, v52, v5 :: v_dual_fmamk_f32 v52, v3, 0x3f6eb680, v55
	v_fmamk_f32 v55, v3, 0xbf1a4643, v2
	v_fma_f32 v2, 0xbf1a4643, v3, -v2
	v_add_f32_e32 v3, v23, v17
	v_add_f32_e32 v45, v54, v58
	;; [unrolled: 1-line block ×3, first 2 shown]
	v_fma_f32 v52, 0xbf1a4643, v59, -v53
	v_sub_f32_e32 v54, v17, v23
	v_fmac_f32_e32 v53, 0xbf1a4643, v59
	s_delay_alu instid0(VALU_DEP_3) | instskip(SKIP_2) | instid1(VALU_DEP_4)
	v_dual_add_f32 v33, v55, v33 :: v_dual_add_f32 v32, v52, v32
	v_add_f32_e32 v52, v22, v16
	v_sub_f32_e32 v16, v16, v22
	v_add_f32_e32 v12, v53, v12
	s_delay_alu instid0(VALU_DEP_2) | instskip(NEXT) | instid1(VALU_DEP_1)
	v_dual_add_f32 v2, v2, v13 :: v_dual_mul_f32 v17, 0xbf4c4adb, v16
	v_fmamk_f32 v53, v3, 0xbf1a4643, v17
	v_fma_f32 v17, 0xbf1a4643, v3, -v17
	v_mul_f32_e32 v13, 0x3f763a35, v54
	s_delay_alu instid0(VALU_DEP_3) | instskip(SKIP_1) | instid1(VALU_DEP_4)
	v_add_f32_e32 v15, v53, v15
	v_mul_f32_e32 v53, 0x3f763a35, v16
	v_dual_add_f32 v17, v17, v25 :: v_dual_add_f32 v46, v46, v56
	s_delay_alu instid0(VALU_DEP_2) | instskip(NEXT) | instid1(VALU_DEP_1)
	v_fmamk_f32 v25, v3, 0xbe8c1d8e, v53
	v_dual_mul_f32 v22, 0xbf4c4adb, v54 :: v_dual_add_f32 v25, v25, v27
	s_delay_alu instid0(VALU_DEP_1) | instskip(NEXT) | instid1(VALU_DEP_1)
	v_fma_f32 v23, 0xbf1a4643, v52, -v22
	v_add_f32_e32 v14, v23, v14
	v_fma_f32 v23, 0xbe8c1d8e, v52, -v13
	v_fmac_f32_e32 v13, 0xbe8c1d8e, v52
	s_delay_alu instid0(VALU_DEP_2) | instskip(NEXT) | instid1(VALU_DEP_2)
	v_dual_fmac_f32 v22, 0xbf1a4643, v52 :: v_dual_add_f32 v23, v23, v26
	v_add_f32_e32 v13, v13, v29
	v_fma_f32 v26, 0xbe8c1d8e, v3, -v53
	v_mul_f32_e32 v53, 0xbeb8f4ab, v16
	s_delay_alu instid0(VALU_DEP_4) | instskip(NEXT) | instid1(VALU_DEP_2)
	v_dual_add_f32 v22, v22, v24 :: v_dual_mul_f32 v29, 0xbf06c442, v54
	v_dual_add_f32 v26, v26, v28 :: v_dual_fmamk_f32 v27, v3, 0x3f6eb680, v53
	s_delay_alu instid0(VALU_DEP_1) | instskip(NEXT) | instid1(VALU_DEP_1)
	v_dual_mul_f32 v24, 0xbeb8f4ab, v54 :: v_dual_add_f32 v27, v27, v36
	v_fma_f32 v55, 0x3f6eb680, v52, -v24
	s_delay_alu instid0(VALU_DEP_1) | instskip(SKIP_4) | instid1(VALU_DEP_4)
	v_add_f32_e32 v28, v55, v35
	v_fma_f32 v35, 0x3f6eb680, v3, -v53
	v_fma_f32 v53, 0xbf59a7d5, v52, -v29
	v_fmac_f32_e32 v24, 0x3f6eb680, v52
	v_fmac_f32_e32 v29, 0xbf59a7d5, v52
	v_dual_mul_f32 v36, 0xbf06c442, v16 :: v_dual_add_f32 v35, v35, v38
	s_delay_alu instid0(VALU_DEP_3) | instskip(SKIP_1) | instid1(VALU_DEP_4)
	v_dual_add_f32 v39, v53, v39 :: v_dual_add_f32 v24, v24, v37
	v_mul_f32_e32 v37, 0x3f7ee86f, v54
	v_add_f32_e32 v29, v29, v34
	s_delay_alu instid0(VALU_DEP_2) | instskip(SKIP_3) | instid1(VALU_DEP_2)
	v_fma_f32 v53, 0x3dbcf732, v52, -v37
	v_fmac_f32_e32 v37, 0x3dbcf732, v52
	v_fmamk_f32 v38, v3, 0xbf59a7d5, v36
	v_fma_f32 v36, 0xbf59a7d5, v3, -v36
	v_dual_add_f32 v37, v37, v47 :: v_dual_add_f32 v38, v38, v41
	s_delay_alu instid0(VALU_DEP_2) | instskip(SKIP_1) | instid1(VALU_DEP_2)
	v_dual_mul_f32 v41, 0x3f7ee86f, v16 :: v_dual_add_f32 v34, v36, v43
	v_dual_add_f32 v36, v53, v42 :: v_dual_mul_f32 v53, 0xbf2c7751, v16
	v_fmamk_f32 v43, v3, 0x3dbcf732, v41
	v_mul_f32_e32 v42, 0xbf2c7751, v54
	v_fma_f32 v41, 0x3dbcf732, v3, -v41
	s_delay_alu instid0(VALU_DEP_4) | instskip(NEXT) | instid1(VALU_DEP_4)
	v_fma_f32 v47, 0x3f3d2fb0, v3, -v53
	v_add_f32_e32 v43, v43, v44
	s_delay_alu instid0(VALU_DEP_4) | instskip(NEXT) | instid1(VALU_DEP_4)
	v_fma_f32 v55, 0x3f3d2fb0, v52, -v42
	v_dual_add_f32 v30, v41, v30 :: v_dual_fmamk_f32 v41, v3, 0x3f3d2fb0, v53
	v_fmac_f32_e32 v42, 0x3f3d2fb0, v52
	s_delay_alu instid0(VALU_DEP_3) | instskip(SKIP_1) | instid1(VALU_DEP_4)
	v_dual_mul_f32 v44, 0xbe3c28d5, v54 :: v_dual_add_f32 v31, v55, v31
	v_add_f32_e32 v5, v47, v5
	v_dual_add_f32 v41, v41, v46 :: v_dual_mul_f32 v46, 0xbe3c28d5, v16
	s_delay_alu instid0(VALU_DEP_3)
	v_fma_f32 v53, 0xbf7ba420, v52, -v44
	v_add_f32_e32 v4, v42, v4
	v_mul_f32_e32 v42, 0x3f65296c, v54
	v_fmac_f32_e32 v44, 0xbf7ba420, v52
	v_fmamk_f32 v47, v3, 0xbf7ba420, v46
	v_fma_f32 v46, 0xbf7ba420, v3, -v46
	v_add_f32_e32 v51, v53, v51
	v_fma_f32 v53, 0x3ee437d1, v52, -v42
	v_dual_mul_f32 v16, 0x3f65296c, v16 :: v_dual_add_f32 v7, v44, v7
	s_delay_alu instid0(VALU_DEP_4) | instskip(SKIP_1) | instid1(VALU_DEP_4)
	v_add_f32_e32 v44, v46, v45
	v_dual_add_f32 v6, v47, v6 :: v_dual_sub_f32 v47, v18, v20
	v_dual_add_f32 v32, v53, v32 :: v_dual_sub_f32 v45, v19, v21
	s_delay_alu instid0(VALU_DEP_4) | instskip(SKIP_3) | instid1(VALU_DEP_3)
	v_fmamk_f32 v46, v3, 0x3ee437d1, v16
	v_fmac_f32_e32 v42, 0x3ee437d1, v52
	v_fma_f32 v3, 0x3ee437d1, v3, -v16
	v_add_f32_e32 v16, v21, v19
	v_dual_mul_f32 v19, 0xbf06c442, v47 :: v_dual_add_f32 v12, v42, v12
	s_delay_alu instid0(VALU_DEP_3) | instskip(SKIP_1) | instid1(VALU_DEP_3)
	v_add_f32_e32 v2, v3, v2
	v_mul_f32_e32 v42, 0x3f65296c, v45
	v_fmamk_f32 v3, v16, 0xbf59a7d5, v19
	v_add_f32_e32 v18, v20, v18
	v_fma_f32 v19, 0xbf59a7d5, v16, -v19
	s_delay_alu instid0(VALU_DEP_3) | instskip(NEXT) | instid1(VALU_DEP_3)
	v_add_f32_e32 v3, v3, v15
	v_fma_f32 v15, 0x3ee437d1, v18, -v42
	v_mul_f32_e32 v20, 0xbf06c442, v45
	s_delay_alu instid0(VALU_DEP_4) | instskip(SKIP_1) | instid1(VALU_DEP_4)
	v_dual_fmac_f32 v42, 0x3ee437d1, v18 :: v_dual_add_f32 v17, v19, v17
	v_mul_f32_e32 v19, 0xbf7ee86f, v45
	v_add_f32_e32 v15, v15, v23
	s_delay_alu instid0(VALU_DEP_3)
	v_add_f32_e32 v13, v42, v13
	v_add_f32_e32 v21, v46, v33
	v_fma_f32 v33, 0xbf59a7d5, v18, -v20
	v_fmac_f32_e32 v20, 0xbf59a7d5, v18
	v_mul_f32_e32 v46, 0xbf7ee86f, v47
	v_mul_f32_e32 v42, 0x3f4c4adb, v47
	s_delay_alu instid0(VALU_DEP_4) | instskip(NEXT) | instid1(VALU_DEP_4)
	v_dual_add_f32 v14, v33, v14 :: v_dual_mul_f32 v33, 0x3f65296c, v47
	v_add_f32_e32 v20, v20, v22
	s_delay_alu instid0(VALU_DEP_2) | instskip(SKIP_2) | instid1(VALU_DEP_3)
	v_fmamk_f32 v22, v16, 0x3ee437d1, v33
	v_fma_f32 v23, 0x3ee437d1, v16, -v33
	v_fma_f32 v33, 0x3dbcf732, v18, -v19
	v_dual_fmac_f32 v19, 0x3dbcf732, v18 :: v_dual_add_f32 v22, v22, v25
	s_delay_alu instid0(VALU_DEP_3) | instskip(NEXT) | instid1(VALU_DEP_3)
	v_add_f32_e32 v23, v23, v26
	v_add_f32_e32 v25, v33, v28
	v_fma_f32 v33, 0x3dbcf732, v16, -v46
	s_delay_alu instid0(VALU_DEP_4) | instskip(NEXT) | instid1(VALU_DEP_2)
	v_dual_add_f32 v19, v19, v24 :: v_dual_mul_f32 v28, 0x3f4c4adb, v45
	v_dual_add_f32 v24, v33, v35 :: v_dual_fmamk_f32 v33, v16, 0xbf1a4643, v42
	v_mul_f32_e32 v35, 0xbeb8f4ab, v45
	s_delay_alu instid0(VALU_DEP_2) | instskip(NEXT) | instid1(VALU_DEP_2)
	v_dual_add_f32 v33, v33, v38 :: v_dual_fmamk_f32 v26, v16, 0x3dbcf732, v46
	v_fma_f32 v38, 0x3f6eb680, v18, -v35
	v_fmac_f32_e32 v35, 0x3f6eb680, v18
	v_mul_f32_e32 v46, 0xbe3c28d5, v47
	s_delay_alu instid0(VALU_DEP_4) | instskip(SKIP_4) | instid1(VALU_DEP_3)
	v_add_f32_e32 v26, v26, v27
	v_fma_f32 v27, 0xbf1a4643, v18, -v28
	v_fmac_f32_e32 v28, 0xbf1a4643, v18
	v_dual_add_f32 v36, v38, v36 :: v_dual_add_f32 v35, v35, v37
	v_fmamk_f32 v37, v16, 0xbf7ba420, v46
	v_dual_add_f32 v27, v27, v39 :: v_dual_add_f32 v28, v28, v29
	s_delay_alu instid0(VALU_DEP_2) | instskip(SKIP_1) | instid1(VALU_DEP_1)
	v_add_f32_e32 v37, v37, v41
	v_fma_f32 v39, 0xbf1a4643, v16, -v42
	v_dual_mul_f32 v42, 0xbeb8f4ab, v47 :: v_dual_add_f32 v29, v39, v34
	s_delay_alu instid0(VALU_DEP_1) | instskip(SKIP_1) | instid1(VALU_DEP_2)
	v_fmamk_f32 v38, v16, 0x3f6eb680, v42
	v_fma_f32 v39, 0x3f6eb680, v16, -v42
	v_add_f32_e32 v38, v38, v43
	s_delay_alu instid0(VALU_DEP_2) | instskip(SKIP_1) | instid1(VALU_DEP_1)
	v_dual_add_f32 v30, v39, v30 :: v_dual_mul_f32 v43, 0x3f2c7751, v47
	v_mul_f32_e32 v39, 0x3f2c7751, v45
	v_fma_f32 v41, 0x3f3d2fb0, v18, -v39
	v_fmac_f32_e32 v39, 0x3f3d2fb0, v18
	s_delay_alu instid0(VALU_DEP_2) | instskip(NEXT) | instid1(VALU_DEP_2)
	v_dual_mul_f32 v34, 0xbe3c28d5, v45 :: v_dual_add_f32 v41, v41, v51
	v_add_f32_e32 v39, v39, v7
	s_delay_alu instid0(VALU_DEP_2) | instskip(SKIP_1) | instid1(VALU_DEP_2)
	v_fma_f32 v42, 0xbf7ba420, v18, -v34
	v_dual_fmac_f32 v34, 0xbf7ba420, v18 :: v_dual_add_f32 v51, v11, v9
	v_add_f32_e32 v31, v42, v31
	v_fma_f32 v42, 0xbf7ba420, v16, -v46
	s_delay_alu instid0(VALU_DEP_3) | instskip(SKIP_3) | instid1(VALU_DEP_2)
	v_add_f32_e32 v34, v34, v4
	v_fmamk_f32 v4, v16, 0x3f3d2fb0, v43
	v_fma_f32 v43, 0x3f3d2fb0, v16, -v43
	v_add_f32_e32 v46, v10, v8
	v_dual_add_f32 v43, v43, v44 :: v_dual_sub_f32 v44, v9, v11
	v_add_f32_e32 v42, v42, v5
	v_mul_f32_e32 v5, 0xbf763a35, v45
	v_dual_add_f32 v45, v4, v6 :: v_dual_mul_f32 v6, 0xbf763a35, v47
	v_sub_f32_e32 v47, v8, v10
	v_mul_f32_e32 v7, 0xbe3c28d5, v44
	s_delay_alu instid0(VALU_DEP_4) | instskip(SKIP_1) | instid1(VALU_DEP_4)
	v_fma_f32 v4, 0xbe8c1d8e, v18, -v5
	v_fmac_f32_e32 v5, 0xbe8c1d8e, v18
	v_mul_f32_e32 v8, 0xbe3c28d5, v47
	v_mul_f32_e32 v10, 0xbf06c442, v47
	s_delay_alu instid0(VALU_DEP_4) | instskip(NEXT) | instid1(VALU_DEP_4)
	v_add_f32_e32 v32, v4, v32
	v_add_f32_e32 v53, v5, v12
	v_mul_f32_e32 v11, 0x3f2c7751, v47
	v_fma_f32 v5, 0xbf7ba420, v51, -v8
	s_delay_alu instid0(VALU_DEP_1) | instskip(SKIP_1) | instid1(VALU_DEP_2)
	v_dual_add_f32 v63, v5, v17 :: v_dual_fmamk_f32 v4, v16, 0xbe8c1d8e, v6
	v_fma_f32 v6, 0xbe8c1d8e, v16, -v6
	v_add_f32_e32 v52, v4, v21
	v_fmamk_f32 v4, v51, 0xbf7ba420, v8
	v_mul_f32_e32 v8, 0x3eb8f4ab, v47
	s_delay_alu instid0(VALU_DEP_4) | instskip(NEXT) | instid1(VALU_DEP_3)
	v_dual_add_f32 v54, v6, v2 :: v_dual_mul_f32 v21, 0x3f65296c, v47
	v_add_f32_e32 v3, v4, v3
	v_fma_f32 v9, 0xbf7ba420, v46, -v7
	v_fmac_f32_e32 v7, 0xbf7ba420, v46
	s_delay_alu instid0(VALU_DEP_2) | instskip(SKIP_1) | instid1(VALU_DEP_3)
	v_dual_fmamk_f32 v5, v51, 0x3f6eb680, v8 :: v_dual_add_f32 v2, v9, v14
	v_mul_f32_e32 v9, 0xbf06c442, v44
	v_add_f32_e32 v62, v7, v20
	v_fma_f32 v7, 0x3f6eb680, v51, -v8
	s_delay_alu instid0(VALU_DEP_4) | instskip(NEXT) | instid1(VALU_DEP_4)
	v_dual_mul_f32 v6, 0x3eb8f4ab, v44 :: v_dual_add_f32 v5, v5, v22
	v_fma_f32 v8, 0xbf59a7d5, v46, -v9
	v_fmac_f32_e32 v9, 0xbf59a7d5, v46
	s_delay_alu instid0(VALU_DEP_4) | instskip(NEXT) | instid1(VALU_DEP_4)
	v_add_f32_e32 v61, v7, v23
	v_fma_f32 v4, 0x3f6eb680, v46, -v6
	v_fmac_f32_e32 v6, 0x3f6eb680, v46
	v_mul_f32_e32 v23, 0xbf763a35, v47
	s_delay_alu instid0(VALU_DEP_3) | instskip(NEXT) | instid1(VALU_DEP_3)
	v_add_f32_e32 v4, v4, v15
	v_add_f32_e32 v60, v6, v13
	v_dual_add_f32 v6, v8, v25 :: v_dual_mul_f32 v15, 0xbf4c4adb, v47
	s_delay_alu instid0(VALU_DEP_1) | instskip(SKIP_1) | instid1(VALU_DEP_2)
	v_dual_add_f32 v8, v9, v19 :: v_dual_fmamk_f32 v17, v51, 0xbf1a4643, v15
	v_fma_f32 v18, 0xbf1a4643, v51, -v15
	v_dual_mul_f32 v12, 0x3f2c7751, v44 :: v_dual_add_f32 v15, v17, v38
	s_delay_alu instid0(VALU_DEP_2) | instskip(SKIP_2) | instid1(VALU_DEP_4)
	v_add_f32_e32 v17, v18, v30
	v_fmamk_f32 v7, v51, 0xbf59a7d5, v10
	v_fma_f32 v10, 0xbf59a7d5, v51, -v10
	v_fma_f32 v13, 0x3f3d2fb0, v46, -v12
	s_delay_alu instid0(VALU_DEP_3) | instskip(NEXT) | instid1(VALU_DEP_3)
	v_add_f32_e32 v7, v7, v26
	v_add_f32_e32 v9, v10, v24
	v_mul_f32_e32 v24, 0xbf763a35, v44
	v_fma_f32 v26, 0xbe8c1d8e, v51, -v23
	v_mul_f32_e32 v20, 0x3f65296c, v44
	v_add_f32_e32 v10, v13, v27
	v_fma_f32 v13, 0x3f3d2fb0, v51, -v11
	v_fma_f32 v22, 0xbe8c1d8e, v46, -v24
	v_fmamk_f32 v25, v51, 0xbe8c1d8e, v23
	v_mul_f32_e32 v27, 0x3f7ee86f, v47
	s_delay_alu instid0(VALU_DEP_4) | instskip(NEXT) | instid1(VALU_DEP_4)
	v_dual_fmac_f32 v24, 0xbe8c1d8e, v46 :: v_dual_add_f32 v13, v13, v29
	v_add_f32_e32 v22, v22, v41
	s_delay_alu instid0(VALU_DEP_4) | instskip(SKIP_3) | instid1(VALU_DEP_4)
	v_dual_fmac_f32 v12, 0x3f3d2fb0, v46 :: v_dual_add_f32 v23, v25, v45
	v_add_f32_e32 v25, v26, v43
	v_fma_f32 v19, 0x3ee437d1, v46, -v20
	v_mul_lo_u16 v26, v66, 17
	v_add_f32_e32 v12, v12, v28
	v_fmamk_f32 v30, v51, 0x3dbcf732, v27
	v_fmac_f32_e32 v20, 0x3ee437d1, v46
	v_add_f32_e32 v18, v19, v31
	v_fmamk_f32 v19, v51, 0x3ee437d1, v21
	v_mul_f32_e32 v16, 0xbf4c4adb, v44
	v_fma_f32 v21, 0x3ee437d1, v51, -v21
	v_fmamk_f32 v14, v51, 0x3f3d2fb0, v11
	v_fma_f32 v31, 0x3dbcf732, v51, -v27
	v_dual_add_f32 v19, v19, v37 :: v_dual_mul_f32 v28, 0x3f7ee86f, v44
	s_delay_alu instid0(VALU_DEP_4) | instskip(NEXT) | instid1(VALU_DEP_4)
	v_add_f32_e32 v21, v21, v42
	v_add_f32_e32 v11, v14, v33
	v_fma_f32 v14, 0xbf1a4643, v46, -v16
	v_dual_fmac_f32 v16, 0xbf1a4643, v46 :: v_dual_add_f32 v27, v30, v52
	v_fma_f32 v29, 0x3dbcf732, v46, -v28
	s_delay_alu instid0(VALU_DEP_3) | instskip(NEXT) | instid1(VALU_DEP_3)
	v_dual_add_f32 v14, v14, v36 :: v_dual_and_b32 v33, 0xffff, v26
	v_add_f32_e32 v16, v16, v35
	v_add_f32_e32 v20, v20, v34
	s_delay_alu instid0(VALU_DEP_4) | instskip(SKIP_3) | instid1(VALU_DEP_3)
	v_dual_add_f32 v26, v29, v32 :: v_dual_add_f32 v29, v31, v54
	v_fmac_f32_e32 v28, 0x3dbcf732, v46
	v_lshlrev_b32_e32 v84, 3, v33
	v_add_f32_e32 v24, v24, v39
                                        ; implicit-def: $vgpr66
	v_add_f32_e32 v28, v28, v53
	ds_store_2addr_b64 v84, v[0:1], v[2:3] offset1:1
	ds_store_2addr_b64 v84, v[4:5], v[6:7] offset0:2 offset1:3
	ds_store_2addr_b64 v84, v[10:11], v[14:15] offset0:4 offset1:5
	;; [unrolled: 1-line block ×7, first 2 shown]
	ds_store_b64 v84, v[62:63] offset:128
	v_add_nc_u32_e32 v1, 0x1400, v139
	v_add_nc_u32_e32 v0, 0x400, v139
	global_wb scope:SCOPE_SE
	s_wait_dscnt 0x0
	s_barrier_signal -1
	s_barrier_wait -1
	global_inv scope:SCOPE_SE
	ds_load_2addr_b64 v[36:39], v139 offset1:85
	ds_load_2addr_b64 v[32:35], v0 offset0:42 offset1:161
	ds_load_2addr_b64 v[44:47], v40 offset0:66 offset1:151
	;; [unrolled: 1-line block ×6, first 2 shown]
	ds_load_b64 v[72:73], v139 offset:10608
	s_and_saveexec_b32 s2, vcc_lo
	s_cbranch_execz .LBB0_3
; %bb.2:
	ds_load_b64 v[60:61], v139 offset:2040
	ds_load_b64 v[62:63], v139 offset:4352
	;; [unrolled: 1-line block ×5, first 2 shown]
.LBB0_3:
	s_wait_alu 0xfffe
	s_or_b32 exec_lo, exec_lo, s2
	v_and_b32_e32 v0, 0xff, v92
	v_add_nc_u16 v3, v92, 0xaa
	s_delay_alu instid0(VALU_DEP_2) | instskip(NEXT) | instid1(VALU_DEP_1)
	v_mul_lo_u16 v0, 0xf1, v0
	v_lshrrev_b16 v74, 12, v0
	v_add_nc_u16 v0, v92, 0x55
	s_delay_alu instid0(VALU_DEP_2) | instskip(NEXT) | instid1(VALU_DEP_2)
	v_mul_lo_u16 v1, v74, 17
	v_and_b32_e32 v2, 0xff, v0
	v_and_b32_e32 v74, 0xffff, v74
	s_delay_alu instid0(VALU_DEP_3) | instskip(NEXT) | instid1(VALU_DEP_3)
	v_sub_nc_u16 v1, v92, v1
	v_mul_lo_u16 v2, 0xf1, v2
	s_delay_alu instid0(VALU_DEP_3) | instskip(NEXT) | instid1(VALU_DEP_3)
	v_mul_u32_u24_e32 v74, 0x55, v74
	v_and_b32_e32 v75, 0xff, v1
	s_delay_alu instid0(VALU_DEP_3) | instskip(NEXT) | instid1(VALU_DEP_2)
	v_lshrrev_b16 v76, 12, v2
	v_lshlrev_b32_e32 v2, 5, v75
	s_clause 0x1
	global_load_b128 v[24:27], v2, s[10:11]
	global_load_b128 v[12:15], v2, s[10:11] offset:16
	v_and_b32_e32 v4, 0xff, v3
	s_delay_alu instid0(VALU_DEP_1) | instskip(SKIP_2) | instid1(VALU_DEP_3)
	v_mul_lo_u16 v1, 0xf1, v4
	v_mul_lo_u16 v4, v76, 17
	v_and_b32_e32 v76, 0xffff, v76
	v_lshrrev_b16 v77, 12, v1
	s_delay_alu instid0(VALU_DEP_3) | instskip(NEXT) | instid1(VALU_DEP_3)
	v_sub_nc_u16 v0, v0, v4
	v_mul_u32_u24_e32 v76, 0x55, v76
	v_add_nc_u16 v1, v92, 0xff
	s_delay_alu instid0(VALU_DEP_4) | instskip(NEXT) | instid1(VALU_DEP_4)
	v_mul_lo_u16 v2, v77, 17
	v_and_b32_e32 v78, 0xff, v0
	v_and_b32_e32 v77, 0xffff, v77
	s_delay_alu instid0(VALU_DEP_3) | instskip(NEXT) | instid1(VALU_DEP_1)
	v_sub_nc_u16 v2, v3, v2
	v_and_b32_e32 v79, 0xff, v2
	s_wait_loadcnt_dscnt 0x3
	v_mul_f32_e32 v81, v52, v15
	v_lshlrev_b32_e32 v3, 5, v78
	v_add_lshl_u32 v94, v76, v78, 3
	v_mul_f32_e32 v76, v45, v27
	v_add_lshl_u32 v95, v74, v75, 3
	v_mul_f32_e32 v74, v35, v25
	s_clause 0x1
	global_load_b128 v[28:31], v3, s[10:11]
	global_load_b128 v[20:23], v3, s[10:11] offset:16
	v_mul_f32_e32 v80, v53, v15
	v_mul_u32_u24_e32 v77, 0x55, v77
	v_mul_f32_e32 v78, v43, v13
	v_mul_f32_e32 v75, v34, v25
	v_fma_f32 v74, v34, v24, -v74
	v_fma_f32 v76, v44, v26, -v76
	v_add_lshl_u32 v93, v77, v79, 3
	v_dual_mul_f32 v77, v44, v27 :: v_dual_and_b32 v0, 0xffff, v1
	v_fmac_f32_e32 v75, v35, v24
	v_fma_f32 v78, v42, v12, -v78
	v_fma_f32 v80, v52, v14, -v80
	s_delay_alu instid0(VALU_DEP_4) | instskip(SKIP_3) | instid1(VALU_DEP_4)
	v_fmac_f32_e32 v77, v45, v26
	v_mul_u32_u24_e32 v0, 0xf0f1, v0
	v_add_f32_e32 v128, v37, v75
	v_fmac_f32_e32 v81, v53, v14
	v_dual_sub_f32 v127, v78, v80 :: v_dual_sub_f32 v132, v75, v77
	s_delay_alu instid0(VALU_DEP_4)
	v_lshrrev_b32_e32 v2, 20, v0
	v_dual_mul_f32 v79, v42, v13 :: v_dual_lshlrev_b32 v0, 5, v79
	v_sub_f32_e32 v131, v76, v78
	scratch_store_b32 off, v2, off offset:44 ; 4-byte Folded Spill
	v_mul_lo_u16 v2, v2, 17
	v_fmac_f32_e32 v79, v43, v12
	s_clause 0x1
	global_load_b128 v[16:19], v0, s[10:11]
	global_load_b128 v[8:11], v0, s[10:11] offset:16
	v_sub_nc_u16 v0, v1, v2
	v_dual_add_f32 v130, v77, v79 :: v_dual_sub_f32 v135, v79, v81
	v_sub_f32_e32 v133, v81, v79
	scratch_store_b32 off, v0, off offset:48 ; 4-byte Folded Spill
	v_lshlrev_b16 v0, 2, v0
	s_delay_alu instid0(VALU_DEP_1) | instskip(SKIP_1) | instid1(VALU_DEP_1)
	v_and_b32_e32 v0, 0xffff, v0
	s_wait_loadcnt 0x3
	v_dual_mul_f32 v35, v47, v31 :: v_dual_lshlrev_b32 v0, 3, v0
	s_clause 0x1
	global_load_b128 v[4:7], v0, s[10:11]
	global_load_b128 v[0:3], v0, s[10:11] offset:16
	s_wait_loadcnt_dscnt 0x402
	v_dual_mul_f32 v34, v57, v29 :: v_dual_mul_f32 v43, v55, v23
	v_dual_mul_f32 v82, v56, v29 :: v_dual_mul_f32 v83, v46, v31
	s_wait_dscnt 0x1
	v_mul_f32_e32 v42, v49, v21
	v_dual_mul_f32 v85, v48, v21 :: v_dual_mul_f32 v86, v54, v23
	v_fma_f32 v56, v56, v28, -v34
	v_fma_f32 v46, v46, v30, -v35
	v_fmac_f32_e32 v83, v47, v30
	s_delay_alu instid0(VALU_DEP_4)
	v_fmac_f32_e32 v85, v49, v20
	v_fma_f32 v48, v48, v20, -v42
	v_fma_f32 v91, v54, v22, -v43
	v_fmac_f32_e32 v86, v55, v22
	v_dual_add_f32 v54, v76, v78 :: v_dual_sub_f32 v55, v74, v76
	global_wb scope:SCOPE_SE
	s_wait_storecnt 0x0
	s_wait_loadcnt_dscnt 0x0
	s_barrier_signal -1
	s_barrier_wait -1
	global_inv scope:SCOPE_SE
	v_dual_mul_f32 v44, v59, v17 :: v_dual_mul_f32 v53, v73, v11
	v_dual_mul_f32 v87, v58, v17 :: v_dual_mul_f32 v88, v40, v19
	;; [unrolled: 1-line block ×4, first 2 shown]
	v_fmac_f32_e32 v82, v57, v28
	v_fma_f32 v47, v58, v16, -v44
	v_dual_fmac_f32 v87, v59, v16 :: v_dual_fmac_f32 v88, v41, v18
	v_fma_f32 v49, v40, v18, -v45
	v_dual_fmac_f32 v89, v51, v8 :: v_dual_fmac_f32 v90, v73, v10
	v_fma_f32 v129, v72, v10, -v53
	v_add_f32_e32 v53, v36, v74
	v_fma_f32 v50, v50, v8, -v52
	v_dual_sub_f32 v72, v75, v81 :: v_dual_sub_f32 v59, v76, v74
	v_dual_sub_f32 v57, v80, v78 :: v_dual_add_f32 v58, v74, v80
	v_dual_sub_f32 v74, v74, v80 :: v_dual_sub_f32 v73, v77, v79
	s_delay_alu instid0(VALU_DEP_4)
	v_dual_add_f32 v146, v49, v50 :: v_dual_sub_f32 v149, v47, v49
	v_dual_sub_f32 v150, v129, v50 :: v_dual_add_f32 v151, v47, v129
	v_dual_sub_f32 v152, v49, v47 :: v_dual_add_f32 v155, v88, v89
	v_add_f32_e32 v154, v33, v87
	v_sub_f32_e32 v156, v47, v129
	v_dual_sub_f32 v158, v90, v89 :: v_dual_add_f32 v159, v87, v90
	v_dual_sub_f32 v148, v88, v89 :: v_dual_sub_f32 v157, v49, v50
	v_sub_f32_e32 v147, v87, v90
	v_sub_f32_e32 v153, v50, v129
	v_mul_f32_e32 v42, v63, v5
	v_mul_f32_e32 v41, v62, v5
	;; [unrolled: 1-line block ×3, first 2 shown]
	v_dual_mul_f32 v40, v66, v7 :: v_dual_mul_f32 v35, v68, v1
	v_dual_mul_f32 v51, v69, v1 :: v_dual_mul_f32 v52, v71, v3
	v_mul_f32_e32 v34, v70, v3
	s_delay_alu instid0(VALU_DEP_3)
	v_dual_add_f32 v134, v75, v81 :: v_dual_fmac_f32 v35, v69, v0
	v_sub_f32_e32 v75, v77, v75
	v_fma_f32 v45, v62, v4, -v42
	v_fmac_f32_e32 v41, v63, v4
	v_fma_f32 v44, v66, v6, -v43
	v_fmac_f32_e32 v40, v67, v6
	v_fma_f32 v43, v68, v0, -v51
	v_add_f32_e32 v51, v53, v76
	v_fma_f32 v42, v70, v2, -v52
	v_fmac_f32_e32 v34, v71, v2
	v_fma_f32 v52, -0.5, v54, v36
	v_add_f32_e32 v136, v55, v57
	v_fma_f32 v54, -0.5, v58, v36
	v_dual_add_f32 v137, v59, v127 :: v_dual_add_f32 v36, v128, v77
	v_fma_f32 v53, -0.5, v130, v37
	v_add_f32_e32 v130, v132, v133
	v_fma_f32 v55, -0.5, v134, v37
	v_dual_add_f32 v132, v75, v135 :: v_dual_sub_f32 v63, v56, v46
	v_add_f32_e32 v37, v38, v56
	v_dual_add_f32 v62, v46, v48 :: v_dual_add_f32 v67, v56, v91
	v_dual_sub_f32 v133, v82, v86 :: v_dual_sub_f32 v66, v91, v48
	v_dual_sub_f32 v135, v56, v91 :: v_dual_sub_f32 v68, v46, v56
	v_add_f32_e32 v71, v83, v85
	v_dual_add_f32 v70, v39, v82 :: v_dual_sub_f32 v75, v82, v83
	v_dual_sub_f32 v138, v46, v48 :: v_dual_sub_f32 v127, v85, v86
	v_sub_f32_e32 v76, v86, v85
	v_dual_add_f32 v77, v82, v86 :: v_dual_add_f32 v128, v32, v47
	v_sub_f32_e32 v82, v83, v82
	v_sub_f32_e32 v47, v87, v88
	v_dual_sub_f32 v87, v88, v87 :: v_dual_sub_f32 v160, v89, v90
	v_dual_fmamk_f32 v57, v74, 0xbf737871, v53 :: v_dual_sub_f32 v134, v83, v85
	v_sub_f32_e32 v69, v48, v91
	v_dual_add_f32 v51, v51, v78 :: v_dual_fmamk_f32 v56, v72, 0x3f737871, v52
	v_fmac_f32_e32 v52, 0xbf737871, v72
	v_dual_fmamk_f32 v58, v73, 0xbf737871, v54 :: v_dual_add_f32 v161, v63, v66
	v_dual_fmac_f32 v54, 0x3f737871, v73 :: v_dual_fmac_f32 v53, 0x3f737871, v74
	v_dual_add_f32 v78, v36, v79 :: v_dual_fmamk_f32 v59, v131, 0x3f737871, v55
	v_fmac_f32_e32 v55, 0xbf737871, v131
	v_dual_add_f32 v79, v37, v46 :: v_dual_add_f32 v162, v68, v69
	v_fma_f32 v62, -0.5, v62, v38
	v_fma_f32 v38, -0.5, v67, v38
	v_add_f32_e32 v83, v70, v83
	v_fma_f32 v63, -0.5, v71, v39
	v_dual_add_f32 v163, v75, v76 :: v_dual_add_f32 v82, v82, v127
	v_fmac_f32_e32 v39, -0.5, v77
	v_dual_add_f32 v49, v128, v49 :: v_dual_sub_f32 v128, v45, v44
	v_fma_f32 v66, -0.5, v146, v32
	v_add_f32_e32 v146, v149, v150
	v_fma_f32 v32, -0.5, v151, v32
	v_dual_add_f32 v149, v152, v153 :: v_dual_sub_f32 v150, v42, v43
	v_dual_add_f32 v75, v154, v88 :: v_dual_sub_f32 v46, v40, v35
	v_fma_f32 v67, -0.5, v155, v33
	v_dual_fmac_f32 v33, -0.5, v159 :: v_dual_sub_f32 v152, v44, v45
	v_dual_add_f32 v87, v87, v160 :: v_dual_add_f32 v154, v40, v35
	v_dual_add_f32 v127, v44, v43 :: v_dual_sub_f32 v164, v35, v34
	v_add_f32_e32 v151, v45, v42
	v_dual_add_f32 v159, v41, v34 :: v_dual_fmac_f32 v52, 0xbf167918, v73
	v_add_f32_e32 v88, v47, v158
	v_dual_sub_f32 v37, v41, v34 :: v_dual_sub_f32 v36, v44, v43
	v_dual_sub_f32 v47, v45, v42 :: v_dual_add_f32 v68, v51, v80
	v_dual_sub_f32 v155, v41, v40 :: v_dual_fmac_f32 v56, 0x3f167918, v73
	v_sub_f32_e32 v158, v34, v35
	v_dual_fmac_f32 v58, 0x3f167918, v72 :: v_dual_add_f32 v69, v78, v81
	v_dual_fmac_f32 v54, 0xbf167918, v72 :: v_dual_fmac_f32 v57, 0xbf167918, v131
	v_dual_fmac_f32 v53, 0x3f167918, v131 :: v_dual_add_f32 v78, v79, v48
	v_fmac_f32_e32 v59, 0xbf167918, v74
	v_dual_fmamk_f32 v70, v133, 0x3f737871, v62 :: v_dual_add_f32 v79, v83, v85
	v_dual_fmac_f32 v62, 0xbf737871, v133 :: v_dual_fmamk_f32 v71, v135, 0xbf737871, v63
	v_fmamk_f32 v72, v134, 0xbf737871, v38
	v_dual_fmamk_f32 v73, v138, 0x3f737871, v39 :: v_dual_add_f32 v80, v49, v50
	v_fmac_f32_e32 v39, 0xbf737871, v138
	s_delay_alu instid0(VALU_DEP_3)
	v_dual_fmac_f32 v55, 0x3f167918, v74 :: v_dual_fmac_f32 v72, 0x3f167918, v133
	v_fma_f32 v48, -0.5, v127, v60
	v_dual_add_f32 v51, v128, v150 :: v_dual_fmac_f32 v56, 0x3e9e377a, v136
	v_fma_f32 v127, -0.5, v151, v60
	v_fma_f32 v49, -0.5, v154, v61
	v_fma_f32 v128, -0.5, v159, v61
	v_dual_sub_f32 v153, v43, v42 :: v_dual_sub_f32 v160, v40, v41
	v_dual_fmac_f32 v38, 0x3f737871, v134 :: v_dual_fmac_f32 v63, 0x3f737871, v135
	v_fmamk_f32 v74, v147, 0x3f737871, v66
	v_dual_fmac_f32 v66, 0xbf737871, v147 :: v_dual_add_f32 v81, v75, v89
	v_fmamk_f32 v76, v148, 0xbf737871, v32
	v_dual_fmac_f32 v32, 0x3f737871, v148 :: v_dual_fmamk_f32 v77, v157, 0x3f737871, v33
	v_dual_fmamk_f32 v75, v156, 0xbf737871, v67 :: v_dual_add_f32 v50, v155, v158
	v_fmac_f32_e32 v67, 0x3f737871, v156
	v_fmac_f32_e32 v33, 0xbf737871, v157
	v_dual_fmac_f32 v54, 0x3e9e377a, v137 :: v_dual_fmac_f32 v57, 0x3e9e377a, v130
	v_dual_fmac_f32 v53, 0x3e9e377a, v130 :: v_dual_add_f32 v80, v80, v129
	v_add_f32_e32 v78, v78, v91
	v_dual_fmac_f32 v70, 0x3f167918, v134 :: v_dual_fmac_f32 v39, 0x3f167918, v135
	v_fmac_f32_e32 v59, 0x3e9e377a, v132
	v_dual_fmac_f32 v62, 0xbf167918, v134 :: v_dual_fmac_f32 v73, 0xbf167918, v135
	v_fmac_f32_e32 v55, 0x3e9e377a, v132
	v_fmamk_f32 v129, v37, 0xbf737871, v48
	v_fmamk_f32 v131, v46, 0xbf737871, v127
	v_dual_fmac_f32 v127, 0x3f737871, v46 :: v_dual_fmamk_f32 v132, v36, 0x3f737871, v128
	v_fmamk_f32 v130, v47, 0x3f737871, v49
	v_dual_fmac_f32 v128, 0xbf737871, v36 :: v_dual_add_f32 v83, v152, v153
	v_fmac_f32_e32 v52, 0x3e9e377a, v136
	v_dual_add_f32 v85, v160, v164 :: v_dual_fmac_f32 v58, 0x3e9e377a, v137
	v_dual_fmac_f32 v38, 0xbf167918, v133 :: v_dual_add_f32 v79, v79, v86
	v_dual_fmac_f32 v71, 0xbf167918, v138 :: v_dual_fmac_f32 v66, 0xbf167918, v148
	v_dual_fmac_f32 v63, 0x3f167918, v138 :: v_dual_fmac_f32 v74, 0x3f167918, v148
	;; [unrolled: 1-line block ×5, first 2 shown]
	v_fmac_f32_e32 v129, 0xbf167918, v46
	v_fmac_f32_e32 v131, 0x3f167918, v37
	v_dual_fmac_f32 v127, 0xbf167918, v37 :: v_dual_fmac_f32 v32, 0xbf167918, v147
	v_fmac_f32_e32 v75, 0xbf167918, v157
	v_dual_fmac_f32 v76, 0x3f167918, v147 :: v_dual_add_f32 v81, v81, v90
	v_fmac_f32_e32 v70, 0x3e9e377a, v161
	v_fmac_f32_e32 v62, 0x3e9e377a, v161
	v_dual_fmac_f32 v72, 0x3e9e377a, v162 :: v_dual_fmac_f32 v71, 0x3e9e377a, v163
	v_dual_fmac_f32 v38, 0x3e9e377a, v162 :: v_dual_fmac_f32 v63, 0x3e9e377a, v163
	;; [unrolled: 1-line block ×6, first 2 shown]
	v_fmac_f32_e32 v131, 0x3e9e377a, v83
	v_fmac_f32_e32 v127, 0x3e9e377a, v83
	v_dual_fmac_f32 v73, 0x3e9e377a, v82 :: v_dual_fmac_f32 v76, 0x3e9e377a, v149
	v_dual_fmac_f32 v39, 0x3e9e377a, v82 :: v_dual_fmac_f32 v32, 0x3e9e377a, v149
	;; [unrolled: 1-line block ×3, first 2 shown]
	ds_store_2addr_b64 v95, v[68:69], v[56:57] offset1:17
	ds_store_2addr_b64 v95, v[58:59], v[54:55] offset0:34 offset1:51
	scratch_store_b32 off, v95, off offset:60 ; 4-byte Folded Spill
	ds_store_b64 v95, v[52:53] offset:544
	ds_store_2addr_b64 v94, v[78:79], v[70:71] offset1:17
	ds_store_2addr_b64 v94, v[72:73], v[38:39] offset0:34 offset1:51
	scratch_store_b32 off, v94, off offset:56 ; 4-byte Folded Spill
	ds_store_b64 v94, v[62:63] offset:544
	;; [unrolled: 4-line block ×3, first 2 shown]
	s_and_saveexec_b32 s2, vcc_lo
	s_cbranch_execz .LBB0_5
; %bb.4:
	v_dual_mul_f32 v38, 0x3f737871, v47 :: v_dual_add_f32 v39, v61, v41
	v_mul_f32_e32 v32, 0x3f737871, v37
	v_dual_mul_f32 v33, 0x3f167918, v46 :: v_dual_mul_f32 v36, 0x3f167918, v36
	s_delay_alu instid0(VALU_DEP_3) | instskip(SKIP_3) | instid1(VALU_DEP_4)
	v_dual_mul_f32 v37, 0x3e9e377a, v51 :: v_dual_sub_f32 v38, v49, v38
	v_add_f32_e32 v41, v60, v45
	v_add_f32_e32 v39, v39, v40
	v_dual_mul_f32 v45, 0x3e9e377a, v50 :: v_dual_add_f32 v32, v48, v32
	v_sub_f32_e32 v36, v38, v36
	s_delay_alu instid0(VALU_DEP_3)
	v_dual_add_f32 v40, v41, v44 :: v_dual_add_f32 v35, v39, v35
	s_clause 0x1
	scratch_load_b32 v41, off, off offset:44
	scratch_load_b32 v44, off, off offset:48
	v_add_f32_e32 v38, v40, v43
	s_wait_loadcnt 0x0
	v_mad_u16 v41, 0x55, v41, v44
	v_add_f32_e32 v32, v33, v32
	v_add_f32_e32 v33, v45, v36
	s_delay_alu instid0(VALU_DEP_3) | instskip(NEXT) | instid1(VALU_DEP_3)
	v_and_b32_e32 v39, 0xffff, v41
	v_dual_add_f32 v35, v35, v34 :: v_dual_add_f32 v32, v37, v32
	v_add_f32_e32 v34, v38, v42
	s_delay_alu instid0(VALU_DEP_3)
	v_lshlrev_b32_e32 v36, 3, v39
	ds_store_2addr_b64 v36, v[34:35], v[32:33] offset1:17
	ds_store_2addr_b64 v36, v[131:132], v[127:128] offset0:34 offset1:51
	ds_store_b64 v36, v[129:130] offset:544
.LBB0_5:
	s_wait_alu 0xfffe
	s_or_b32 exec_lo, exec_lo, s2
	v_lshlrev_b32_e32 v66, 7, v92
	scratch_store_b32 off, v92, off offset:40 ; 4-byte Folded Spill
	global_wb scope:SCOPE_SE
	s_wait_storecnt_dscnt 0x0
	s_barrier_signal -1
	s_barrier_wait -1
	global_inv scope:SCOPE_SE
	s_clause 0x3
	global_load_b128 v[44:47], v66, s[10:11] offset:544
	global_load_b128 v[40:43], v66, s[10:11] offset:560
	;; [unrolled: 1-line block ×4, first 2 shown]
	v_add_nc_u32_e32 v146, 0x800, v139
	s_add_nc_u64 s[2:3], s[8:9], 0x2d28
	ds_load_2addr_b64 v[56:59], v139 offset0:170 offset1:255
	ds_load_2addr_b64 v[52:55], v146 offset0:84 offset1:169
	v_add_nc_u32_e32 v76, 0xc00, v139
	v_add_nc_u32_e32 v85, 0x1000, v139
	;; [unrolled: 1-line block ×5, first 2 shown]
	s_wait_loadcnt_dscnt 0x201
	v_dual_mul_f32 v60, v57, v47 :: v_dual_mul_f32 v159, v58, v41
	s_wait_loadcnt_dscnt 0x100
	v_mul_f32_e32 v161, v54, v37
	v_mul_f32_e32 v63, v55, v37
	ds_load_2addr_b64 v[48:51], v76 offset0:126 offset1:211
	v_dual_mul_f32 v158, v56, v47 :: v_dual_fmac_f32 v159, v59, v40
	v_mul_f32_e32 v160, v52, v43
	v_mul_f32_e32 v62, v53, v43
	v_fma_f32 v168, v56, v46, -v60
	s_delay_alu instid0(VALU_DEP_4) | instskip(SKIP_2) | instid1(VALU_DEP_2)
	v_dual_fmac_f32 v158, v57, v46 :: v_dual_fmac_f32 v161, v55, v36
	v_mul_f32_e32 v61, v59, v41
	v_fma_f32 v171, v54, v36, -v63
	v_fma_f32 v169, v58, v40, -v61
	s_wait_loadcnt_dscnt 0x0
	v_dual_mul_f32 v166, v48, v39 :: v_dual_mul_f32 v57, v51, v33
	v_dual_mul_f32 v167, v50, v33 :: v_dual_mul_f32 v56, v49, v39
	v_fmac_f32_e32 v160, v53, v42
	s_delay_alu instid0(VALU_DEP_3) | instskip(NEXT) | instid1(VALU_DEP_4)
	v_fmac_f32_e32 v166, v49, v38
	v_fma_f32 v173, v50, v32, -v57
	s_delay_alu instid0(VALU_DEP_4)
	v_fmac_f32_e32 v167, v51, v32
	v_fma_f32 v172, v48, v38, -v56
	ds_load_2addr_b64 v[48:51], v85 offset0:168 offset1:253
	v_fma_f32 v170, v52, v42, -v62
	s_wait_dscnt 0x0
	v_mul_f32_e32 v52, v49, v35
	s_delay_alu instid0(VALU_DEP_1)
	v_fma_f32 v175, v48, v34, -v52
	s_clause 0x1
	global_load_b128 v[60:63], v66, s[10:11] offset:608
	global_load_b128 v[52:55], v66, s[10:11] offset:624
	v_mul_f32_e32 v174, v48, v35
	ds_load_2addr_b64 v[67:70], v147 offset0:124 offset1:209
	v_fmac_f32_e32 v174, v49, v34
	s_wait_loadcnt 0x1
	v_mul_f32_e32 v48, v51, v61
	v_mul_f32_e32 v177, v50, v61
	s_delay_alu instid0(VALU_DEP_2) | instskip(NEXT) | instid1(VALU_DEP_2)
	v_fma_f32 v176, v50, v60, -v48
	v_fmac_f32_e32 v177, v51, v60
	ds_load_2addr_b64 v[48:51], v77 offset0:82 offset1:167
	v_dual_sub_f32 v226, v175, v176 :: v_dual_sub_f32 v225, v174, v177
	s_delay_alu instid0(VALU_DEP_1) | instskip(SKIP_4) | instid1(VALU_DEP_2)
	v_mul_f32_e32 v231, 0x3f2c7751, v225
	v_mul_f32_e32 v255, 0x3f65296c, v225
	s_wait_loadcnt_dscnt 0x0
	v_dual_mul_f32 v181, v50, v53 :: v_dual_mul_f32 v56, v49, v63
	v_mul_f32_e32 v179, v48, v63
	v_fmac_f32_e32 v181, v51, v52
	s_delay_alu instid0(VALU_DEP_3) | instskip(NEXT) | instid1(VALU_DEP_3)
	v_fma_f32 v178, v48, v62, -v56
	v_dual_mul_f32 v48, v51, v53 :: v_dual_fmac_f32 v179, v49, v62
	s_delay_alu instid0(VALU_DEP_2) | instskip(NEXT) | instid1(VALU_DEP_2)
	v_dual_sub_f32 v215, v166, v181 :: v_dual_sub_f32 v222, v173, v178
	v_fma_f32 v180, v50, v52, -v48
	v_mul_f32_e32 v48, v68, v55
	s_delay_alu instid0(VALU_DEP_4) | instskip(NEXT) | instid1(VALU_DEP_2)
	v_sub_f32_e32 v221, v167, v179
	v_fma_f32 v184, v67, v54, -v48
	s_clause 0x1
	global_load_b128 v[56:59], v66, s[10:11] offset:640
	global_load_b128 v[48:51], v66, s[10:11] offset:656
	v_mul_f32_e32 v185, v67, v55
	v_mul_f32_e32 v229, 0x3f4c4adb, v221
	;; [unrolled: 1-line block ×3, first 2 shown]
	s_wait_loadcnt 0x1
	s_delay_alu instid0(VALU_DEP_3) | instskip(SKIP_1) | instid1(VALU_DEP_2)
	v_dual_mul_f32 v66, v70, v57 :: v_dual_fmac_f32 v185, v68, v54
	v_mul_f32_e32 v187, v69, v57
	v_fma_f32 v186, v69, v56, -v66
	ds_load_2addr_b64 v[66:69], v86 offset0:166 offset1:251
	v_fmac_f32_e32 v187, v70, v56
	v_sub_f32_e32 v203, v161, v185
	s_delay_alu instid0(VALU_DEP_1) | instskip(SKIP_4) | instid1(VALU_DEP_2)
	v_mul_f32_e32 v249, 0x3f7ee86f, v203
	v_mul_f32_e32 v145, 0xbeb8f4ab, v203
	s_wait_dscnt 0x0
	v_mul_f32_e32 v70, v67, v59
	v_mul_f32_e32 v189, v66, v59
	v_fma_f32 v188, v66, v58, -v70
	s_wait_loadcnt 0x0
	s_delay_alu instid0(VALU_DEP_2) | instskip(NEXT) | instid1(VALU_DEP_1)
	v_dual_mul_f32 v66, v69, v49 :: v_dual_fmac_f32 v189, v67, v58
	v_fma_f32 v190, v68, v48, -v66
	ds_load_b64 v[66:67], v139 offset:10880
	s_wait_dscnt 0x0
	v_dual_mul_f32 v191, v68, v49 :: v_dual_mul_f32 v68, v67, v51
	s_delay_alu instid0(VALU_DEP_1) | instskip(NEXT) | instid1(VALU_DEP_2)
	v_dual_mul_f32 v194, v66, v51 :: v_dual_fmac_f32 v191, v69, v48
	v_fma_f32 v193, v66, v50, -v68
	s_delay_alu instid0(VALU_DEP_2) | instskip(SKIP_3) | instid1(VALU_DEP_1)
	v_fmac_f32_e32 v194, v67, v50
	ds_load_2addr_b64 v[68:71], v139 offset1:85
	s_wait_dscnt 0x0
	v_mul_f32_e32 v66, v70, v45
	v_fmac_f32_e32 v66, v71, v44
	v_mul_f32_e32 v67, v71, v45
	s_delay_alu instid0(VALU_DEP_1) | instskip(NEXT) | instid1(VALU_DEP_3)
	v_fma_f32 v67, v70, v44, -v67
	v_sub_f32_e32 v70, v66, v194
	s_delay_alu instid0(VALU_DEP_1)
	v_dual_add_f32 v74, v67, v193 :: v_dual_mul_f32 v73, 0xbf65296c, v70
	v_mul_f32_e32 v75, 0xbf7ee86f, v70
	v_mul_f32_e32 v71, 0xbeb8f4ab, v70
	v_dual_mul_f32 v72, 0xbf2c7751, v70 :: v_dual_add_f32 v213, v68, v67
	v_mul_f32_e32 v80, 0xbf763a35, v70
	v_fma_f32 v83, 0x3ee437d1, v74, -v73
	v_mul_f32_e32 v81, 0xbf4c4adb, v70
	v_mul_f32_e32 v82, 0xbf06c442, v70
	v_fma_f32 v78, 0x3f6eb680, v74, -v71
	v_fma_f32 v79, 0x3f3d2fb0, v74, -v72
	v_fmac_f32_e32 v71, 0x3f6eb680, v74
	v_fma_f32 v88, 0xbe8c1d8e, v74, -v80
	v_dual_fmac_f32 v80, 0xbe8c1d8e, v74 :: v_dual_add_f32 v205, v68, v83
	v_add_f32_e32 v149, v66, v194
	v_fmac_f32_e32 v72, 0x3f3d2fb0, v74
	v_mul_f32_e32 v70, 0xbe3c28d5, v70
	v_fmac_f32_e32 v73, 0x3ee437d1, v74
	v_fma_f32 v87, 0x3dbcf732, v74, -v75
	v_fma_f32 v89, 0xbf1a4643, v74, -v81
	v_fmac_f32_e32 v81, 0xbf1a4643, v74
	v_fma_f32 v90, 0xbf59a7d5, v74, -v82
	v_fmac_f32_e32 v82, 0xbf59a7d5, v74
	v_add_f32_e32 v214, v69, v66
	v_dual_add_f32 v208, v68, v79 :: v_dual_fmac_f32 v75, 0x3dbcf732, v74
	v_add_f32_e32 v66, v68, v71
	v_add_f32_e32 v79, v68, v72
	v_fma_f32 v138, 0xbf7ba420, v74, -v70
	v_fmac_f32_e32 v70, 0xbf7ba420, v74
	v_sub_f32_e32 v74, v67, v193
	v_add_f32_e32 v202, v68, v87
	v_add_f32_e32 v200, v68, v88
	;; [unrolled: 1-line block ×4, first 2 shown]
	v_mul_f32_e32 v135, 0xbf7ee86f, v74
	v_mul_f32_e32 v137, 0xbf4c4adb, v74
	v_dual_mul_f32 v136, 0xbf763a35, v74 :: v_dual_add_f32 v183, v68, v89
	v_add_f32_e32 v163, v68, v90
	s_delay_alu instid0(VALU_DEP_4)
	v_fmamk_f32 v153, v149, 0x3dbcf732, v135
	v_fma_f32 v135, 0x3dbcf732, v149, -v135
	v_mul_f32_e32 v134, 0xbf65296c, v74
	v_fmamk_f32 v154, v149, 0xbe8c1d8e, v136
	v_fma_f32 v136, 0xbe8c1d8e, v149, -v136
	v_mul_f32_e32 v148, 0xbf06c442, v74
	v_fma_f32 v156, 0xbf1a4643, v149, -v137
	v_fmamk_f32 v152, v149, 0x3ee437d1, v134
	v_mul_f32_e32 v133, 0xbf2c7751, v74
	v_mul_f32_e32 v91, 0xbeb8f4ab, v74
	v_add_f32_e32 v87, v69, v136
	v_fmamk_f32 v157, v149, 0xbf59a7d5, v148
	v_add_f32_e32 v204, v69, v152
	v_fmamk_f32 v151, v149, 0x3f3d2fb0, v133
	v_fma_f32 v133, 0x3f3d2fb0, v149, -v133
	v_fmamk_f32 v150, v149, 0x3f6eb680, v91
	v_fma_f32 v91, 0x3f6eb680, v149, -v91
	v_fma_f32 v148, 0xbf59a7d5, v149, -v148
	v_add_f32_e32 v136, v69, v156
	v_add_f32_e32 v78, v69, v133
	v_dual_mul_f32 v74, 0xbe3c28d5, v74 :: v_dual_add_f32 v133, v68, v75
	v_fmamk_f32 v155, v149, 0xbf1a4643, v137
	v_dual_add_f32 v192, v69, v150 :: v_dual_add_f32 v71, v158, v191
	v_add_f32_e32 v67, v69, v91
	v_add_f32_e32 v91, v69, v135
	v_fma_f32 v134, 0x3ee437d1, v149, -v134
	v_add_f32_e32 v137, v68, v81
	v_add_f32_e32 v150, v68, v70
	;; [unrolled: 1-line block ×3, first 2 shown]
	v_dual_sub_f32 v155, v158, v191 :: v_dual_sub_f32 v156, v168, v190
	v_add_f32_e32 v75, v169, v188
	v_add_f32_e32 v199, v69, v154
	v_dual_add_f32 v154, v68, v138 :: v_dual_add_f32 v201, v69, v153
	s_delay_alu instid0(VALU_DEP_4)
	v_mul_f32_e32 v72, 0xbf2c7751, v156
	v_dual_fmamk_f32 v164, v149, 0xbf7ba420, v74 :: v_dual_add_f32 v135, v68, v82
	v_fma_f32 v149, 0xbf7ba420, v149, -v74
	v_dual_add_f32 v207, v69, v151 :: v_dual_add_f32 v74, v68, v73
	v_dual_add_f32 v73, v69, v134 :: v_dual_mul_f32 v68, 0xbf2c7751, v155
	v_add_f32_e32 v162, v69, v157
	v_add_f32_e32 v134, v69, v148
	;; [unrolled: 1-line block ×3, first 2 shown]
	v_sub_f32_e32 v164, v169, v188
	v_add_f32_e32 v149, v69, v149
	v_add_f32_e32 v69, v168, v190
	v_dual_sub_f32 v157, v159, v189 :: v_dual_add_f32 v168, v213, v168
	v_add_f32_e32 v158, v214, v158
	v_mul_f32_e32 v94, 0xbe3c28d5, v215
	s_delay_alu instid0(VALU_DEP_4) | instskip(NEXT) | instid1(VALU_DEP_4)
	v_fma_f32 v70, 0x3f3d2fb0, v69, -v68
	v_dual_mul_f32 v233, 0x3f06c442, v155 :: v_dual_add_f32 v168, v168, v169
	s_delay_alu instid0(VALU_DEP_4) | instskip(SKIP_1) | instid1(VALU_DEP_4)
	v_add_f32_e32 v158, v158, v159
	v_mul_f32_e32 v142, 0x3f65296c, v155
	v_add_f32_e32 v80, v70, v165
	v_dual_fmamk_f32 v70, v71, 0x3f3d2fb0, v72 :: v_dual_sub_f32 v165, v160, v187
	v_mul_f32_e32 v82, 0xbf65296c, v164
	v_mul_f32_e32 v169, 0xbf4c4adb, v164
	;; [unrolled: 1-line block ×3, first 2 shown]
	s_delay_alu instid0(VALU_DEP_4) | instskip(SKIP_3) | instid1(VALU_DEP_4)
	v_dual_add_f32 v83, v70, v192 :: v_dual_mul_f32 v70, 0xbf65296c, v157
	v_dual_sub_f32 v192, v170, v186 :: v_dual_mul_f32 v213, 0x3eb8f4ab, v165
	v_mul_f32_e32 v96, 0x3f2c7751, v221
	v_mul_f32_e32 v247, 0xbf06c442, v165
	v_fma_f32 v81, 0x3ee437d1, v75, -v70
	s_delay_alu instid0(VALU_DEP_4)
	v_mul_f32_e32 v248, 0xbf06c442, v192
	v_mul_f32_e32 v214, 0x3eb8f4ab, v192
	;; [unrolled: 1-line block ×4, first 2 shown]
	v_add_f32_e32 v89, v81, v80
	v_add_f32_e32 v81, v159, v189
	v_dual_add_f32 v159, v168, v170 :: v_dual_mul_f32 v168, 0xbf4c4adb, v157
	v_fmac_f32_e32 v68, 0x3f3d2fb0, v69
	v_fmac_f32_e32 v70, 0x3ee437d1, v75
	s_delay_alu instid0(VALU_DEP_3) | instskip(NEXT) | instid1(VALU_DEP_3)
	v_dual_fmamk_f32 v80, v81, 0x3ee437d1, v82 :: v_dual_add_f32 v159, v159, v171
	v_dual_mul_f32 v143, 0x3f4c4adb, v165 :: v_dual_add_f32 v66, v68, v66
	s_delay_alu instid0(VALU_DEP_2) | instskip(NEXT) | instid1(VALU_DEP_3)
	v_dual_add_f32 v138, v80, v83 :: v_dual_add_f32 v83, v170, v186
	v_dual_mul_f32 v80, 0xbf7ee86f, v165 :: v_dual_add_f32 v159, v159, v172
	v_mul_f32_e32 v170, 0xbe3c28d5, v165
	s_delay_alu instid0(VALU_DEP_4) | instskip(NEXT) | instid1(VALU_DEP_3)
	v_add_f32_e32 v66, v70, v66
	v_fma_f32 v90, 0x3dbcf732, v83, -v80
	s_delay_alu instid0(VALU_DEP_4) | instskip(NEXT) | instid1(VALU_DEP_2)
	v_add_f32_e32 v159, v159, v173
	v_add_f32_e32 v151, v90, v89
	v_dual_add_f32 v89, v160, v187 :: v_dual_mul_f32 v90, 0xbf7ee86f, v192
	s_delay_alu instid0(VALU_DEP_3) | instskip(SKIP_1) | instid1(VALU_DEP_2)
	v_add_f32_e32 v159, v159, v175
	v_fmac_f32_e32 v80, 0x3dbcf732, v83
	v_dual_fmamk_f32 v148, v89, 0x3dbcf732, v90 :: v_dual_add_f32 v159, v159, v176
	v_add_f32_e32 v158, v158, v160
	s_delay_alu instid0(VALU_DEP_3) | instskip(NEXT) | instid1(VALU_DEP_3)
	v_add_f32_e32 v66, v80, v66
	v_add_f32_e32 v195, v148, v138
	s_delay_alu instid0(VALU_DEP_4) | instskip(SKIP_3) | instid1(VALU_DEP_4)
	v_add_f32_e32 v159, v159, v178
	v_add_f32_e32 v148, v171, v184
	v_mul_f32_e32 v138, 0xbf763a35, v203
	v_sub_f32_e32 v206, v171, v184
	v_dual_add_f32 v158, v158, v161 :: v_dual_add_f32 v159, v159, v180
	v_mul_f32_e32 v171, 0xbe3c28d5, v192
	s_delay_alu instid0(VALU_DEP_4) | instskip(SKIP_1) | instid1(VALU_DEP_4)
	v_fma_f32 v152, 0xbe8c1d8e, v148, -v138
	v_fma_f32 v68, 0x3dbcf732, v89, -v90
	v_dual_add_f32 v158, v158, v166 :: v_dual_add_f32 v159, v159, v184
	s_delay_alu instid0(VALU_DEP_3) | instskip(SKIP_1) | instid1(VALU_DEP_3)
	v_dual_mul_f32 v184, 0x3e3c28d5, v157 :: v_dual_add_f32 v197, v152, v151
	v_dual_add_f32 v151, v161, v185 :: v_dual_mul_f32 v152, 0xbf763a35, v206
	v_dual_add_f32 v158, v158, v167 :: v_dual_add_f32 v159, v159, v186
	v_fmac_f32_e32 v138, 0xbe8c1d8e, v148
	s_delay_alu instid0(VALU_DEP_3) | instskip(NEXT) | instid1(VALU_DEP_3)
	v_fmamk_f32 v196, v151, 0xbe8c1d8e, v152
	v_dual_add_f32 v158, v158, v174 :: v_dual_add_f32 v159, v159, v188
	s_delay_alu instid0(VALU_DEP_2) | instskip(SKIP_2) | instid1(VALU_DEP_4)
	v_dual_add_f32 v66, v138, v66 :: v_dual_add_f32 v209, v196, v195
	v_dual_add_f32 v196, v172, v180 :: v_dual_mul_f32 v195, 0xbf4c4adb, v215
	v_sub_f32_e32 v216, v172, v180
	v_dual_add_f32 v158, v158, v177 :: v_dual_add_f32 v159, v159, v190
	v_mul_f32_e32 v180, 0xbf4c4adb, v155
	s_delay_alu instid0(VALU_DEP_4) | instskip(SKIP_1) | instid1(VALU_DEP_4)
	v_fma_f32 v198, 0xbf1a4643, v196, -v195
	v_mul_f32_e32 v172, 0x3f06c442, v203
	v_add_f32_e32 v158, v158, v179
	v_fma_f32 v95, 0xbf7ba420, v196, -v94
	s_delay_alu instid0(VALU_DEP_4) | instskip(SKIP_1) | instid1(VALU_DEP_4)
	v_dual_mul_f32 v92, 0xbeb8f4ab, v206 :: v_dual_add_f32 v211, v198, v197
	v_dual_add_f32 v197, v166, v181 :: v_dual_mul_f32 v198, 0xbf4c4adb, v216
	v_dual_add_f32 v158, v158, v181 :: v_dual_mul_f32 v181, 0xbf4c4adb, v156
	s_delay_alu instid0(VALU_DEP_3) | instskip(SKIP_1) | instid1(VALU_DEP_4)
	v_fmamk_f32 v93, v151, 0x3f6eb680, v92
	v_mul_f32_e32 v250, 0x3f7ee86f, v206
	v_dual_fmamk_f32 v210, v197, 0xbf1a4643, v198 :: v_dual_fmac_f32 v195, 0xbf1a4643, v196
	s_delay_alu instid0(VALU_DEP_4) | instskip(NEXT) | instid1(VALU_DEP_2)
	v_fmamk_f32 v161, v71, 0xbf1a4643, v181
	v_dual_mul_f32 v166, 0xbf7ee86f, v155 :: v_dual_add_f32 v217, v210, v209
	v_dual_add_f32 v209, v173, v178 :: v_dual_mul_f32 v210, 0xbf06c442, v221
	s_delay_alu instid0(VALU_DEP_3)
	v_add_f32_e32 v161, v161, v204
	v_mul_f32_e32 v173, 0x3f06c442, v206
	v_mul_f32_e32 v178, 0x3eb8f4ab, v225
	;; [unrolled: 1-line block ×3, first 2 shown]
	v_fma_f32 v212, 0xbf59a7d5, v209, -v210
	v_fma_f32 v97, 0x3f3d2fb0, v209, -v96
	v_mul_f32_e32 v252, 0xbf2c7751, v216
	v_add_f32_e32 v66, v195, v66
	s_delay_alu instid0(VALU_DEP_4) | instskip(SKIP_4) | instid1(VALU_DEP_4)
	v_dual_fmac_f32 v210, 0xbf59a7d5, v209 :: v_dual_add_f32 v219, v212, v211
	v_dual_add_f32 v211, v167, v179 :: v_dual_mul_f32 v212, 0xbf06c442, v222
	v_dual_mul_f32 v167, 0xbf7ee86f, v156 :: v_dual_add_f32 v158, v158, v185
	v_fma_f32 v185, 0xbf7ba420, v75, -v184
	v_mul_f32_e32 v230, 0x3f4c4adb, v222
	v_fmamk_f32 v218, v211, 0xbf59a7d5, v212
	v_mul_f32_e32 v254, 0xbe3c28d5, v222
	v_add_f32_e32 v158, v158, v187
	v_mul_f32_e32 v98, 0xbf763a35, v225
	v_fmac_f32_e32 v184, 0xbf7ba420, v75
	v_add_f32_e32 v224, v218, v217
	v_dual_add_f32 v218, v175, v176 :: v_dual_mul_f32 v217, 0xbe3c28d5, v225
	v_dual_add_f32 v158, v158, v189 :: v_dual_mul_f32 v175, 0x3f763a35, v216
	v_mul_f32_e32 v176, 0x3f65296c, v221
	s_delay_alu instid0(VALU_DEP_3) | instskip(NEXT) | instid1(VALU_DEP_4)
	v_fma_f32 v99, 0xbe8c1d8e, v218, -v98
	v_fma_f32 v220, 0xbf7ba420, v218, -v217
	s_delay_alu instid0(VALU_DEP_4) | instskip(SKIP_1) | instid1(VALU_DEP_3)
	v_add_f32_e32 v160, v158, v191
	v_dual_add_f32 v158, v159, v193 :: v_dual_fmac_f32 v217, 0xbf7ba420, v218
	v_dual_add_f32 v66, v210, v66 :: v_dual_add_f32 v223, v220, v219
	v_dual_add_f32 v219, v174, v177 :: v_dual_mul_f32 v220, 0xbe3c28d5, v226
	s_delay_alu instid0(VALU_DEP_4)
	v_add_f32_e32 v159, v160, v194
	v_fma_f32 v160, 0xbf1a4643, v75, -v168
	v_mul_f32_e32 v174, 0x3f763a35, v215
	v_mul_f32_e32 v177, 0x3f65296c, v222
	v_fmamk_f32 v227, v219, 0xbf7ba420, v220
	v_mul_f32_e32 v179, 0x3eb8f4ab, v226
	v_mul_f32_e32 v232, 0x3f2c7751, v226
	v_mul_f32_e32 v141, 0x3f65296c, v226
	v_add_f32_e32 v66, v217, v66
	v_dual_add_f32 v224, v227, v224 :: v_dual_mul_f32 v227, 0xbf06c442, v215
	ds_store_2addr_b64 v139, v[158:159], v[223:224] offset1:85
	v_fma_f32 v158, 0x3dbcf732, v69, -v166
	v_fmamk_f32 v159, v71, 0x3dbcf732, v167
	v_dual_mul_f32 v223, 0xbf65296c, v203 :: v_dual_mul_f32 v224, 0xbf65296c, v206
	v_fmac_f32_e32 v166, 0x3dbcf732, v69
	s_delay_alu instid0(VALU_DEP_3) | instskip(NEXT) | instid1(VALU_DEP_2)
	v_dual_add_f32 v158, v158, v208 :: v_dual_add_f32 v159, v159, v207
	v_dual_mul_f32 v208, 0x3f763a35, v164 :: v_dual_add_f32 v79, v166, v79
	s_delay_alu instid0(VALU_DEP_2) | instskip(SKIP_1) | instid1(VALU_DEP_1)
	v_add_f32_e32 v158, v160, v158
	v_fmamk_f32 v160, v81, 0xbf1a4643, v169
	v_add_f32_e32 v159, v160, v159
	v_fma_f32 v160, 0xbf7ba420, v83, -v170
	s_delay_alu instid0(VALU_DEP_1) | instskip(SKIP_1) | instid1(VALU_DEP_1)
	v_add_f32_e32 v158, v160, v158
	v_fmamk_f32 v160, v89, 0xbf7ba420, v171
	v_add_f32_e32 v159, v160, v159
	v_fma_f32 v160, 0xbf59a7d5, v148, -v172
	v_fmac_f32_e32 v172, 0xbf59a7d5, v148
	s_delay_alu instid0(VALU_DEP_2) | instskip(SKIP_1) | instid1(VALU_DEP_1)
	v_add_f32_e32 v158, v160, v158
	v_fmamk_f32 v160, v151, 0xbf59a7d5, v173
	v_add_f32_e32 v159, v160, v159
	v_fma_f32 v160, 0xbe8c1d8e, v196, -v174
	v_fmac_f32_e32 v168, 0xbf1a4643, v75
	s_delay_alu instid0(VALU_DEP_2) | instskip(NEXT) | instid1(VALU_DEP_2)
	v_add_f32_e32 v158, v160, v158
	v_dual_fmamk_f32 v160, v197, 0xbe8c1d8e, v175 :: v_dual_add_f32 v79, v168, v79
	s_delay_alu instid0(VALU_DEP_1) | instskip(SKIP_3) | instid1(VALU_DEP_3)
	v_add_f32_e32 v159, v160, v159
	v_fma_f32 v160, 0x3ee437d1, v209, -v176
	v_fmac_f32_e32 v170, 0xbf7ba420, v83
	v_fmac_f32_e32 v176, 0x3ee437d1, v209
	v_add_f32_e32 v158, v160, v158
	s_delay_alu instid0(VALU_DEP_3) | instskip(NEXT) | instid1(VALU_DEP_1)
	v_dual_fmamk_f32 v160, v211, 0x3ee437d1, v177 :: v_dual_add_f32 v79, v170, v79
	v_add_f32_e32 v159, v160, v159
	v_fma_f32 v160, 0x3f6eb680, v218, -v178
	s_delay_alu instid0(VALU_DEP_3) | instskip(NEXT) | instid1(VALU_DEP_2)
	v_dual_fmac_f32 v178, 0x3f6eb680, v218 :: v_dual_add_f32 v79, v172, v79
	v_add_f32_e32 v158, v160, v158
	v_fmamk_f32 v160, v219, 0x3f6eb680, v179
	s_delay_alu instid0(VALU_DEP_1) | instskip(SKIP_2) | instid1(VALU_DEP_2)
	v_add_f32_e32 v159, v160, v159
	v_fma_f32 v160, 0xbf1a4643, v69, -v180
	v_fmac_f32_e32 v180, 0xbf1a4643, v69
	v_add_f32_e32 v160, v160, v205
	s_delay_alu instid0(VALU_DEP_2) | instskip(NEXT) | instid1(VALU_DEP_2)
	v_add_f32_e32 v74, v180, v74
	v_add_f32_e32 v160, v185, v160
	s_delay_alu instid0(VALU_DEP_2) | instskip(NEXT) | instid1(VALU_DEP_1)
	v_dual_mul_f32 v185, 0x3e3c28d5, v164 :: v_dual_add_f32 v74, v184, v74
	v_fmamk_f32 v186, v81, 0xbf7ba420, v185
	s_delay_alu instid0(VALU_DEP_1) | instskip(SKIP_1) | instid1(VALU_DEP_1)
	v_add_f32_e32 v161, v186, v161
	v_mul_f32_e32 v186, 0x3f763a35, v165
	v_fma_f32 v187, 0xbe8c1d8e, v83, -v186
	s_delay_alu instid0(VALU_DEP_1) | instskip(SKIP_1) | instid1(VALU_DEP_1)
	v_add_f32_e32 v160, v187, v160
	v_mul_f32_e32 v187, 0x3f763a35, v192
	v_fmamk_f32 v188, v89, 0xbe8c1d8e, v187
	s_delay_alu instid0(VALU_DEP_1) | instskip(NEXT) | instid1(VALU_DEP_1)
	v_dual_add_f32 v161, v188, v161 :: v_dual_mul_f32 v188, 0x3f2c7751, v203
	v_fma_f32 v189, 0x3f3d2fb0, v148, -v188
	v_fmac_f32_e32 v188, 0x3f3d2fb0, v148
	s_delay_alu instid0(VALU_DEP_2) | instskip(NEXT) | instid1(VALU_DEP_1)
	v_dual_add_f32 v160, v189, v160 :: v_dual_mul_f32 v189, 0x3f2c7751, v206
	v_fmamk_f32 v190, v151, 0x3f3d2fb0, v189
	s_delay_alu instid0(VALU_DEP_1) | instskip(NEXT) | instid1(VALU_DEP_1)
	v_dual_add_f32 v161, v190, v161 :: v_dual_mul_f32 v190, 0xbeb8f4ab, v215
	v_fma_f32 v191, 0x3f6eb680, v196, -v190
	s_delay_alu instid0(VALU_DEP_1) | instskip(SKIP_1) | instid1(VALU_DEP_1)
	v_add_f32_e32 v160, v191, v160
	v_mul_f32_e32 v191, 0xbeb8f4ab, v216
	v_fmamk_f32 v193, v197, 0x3f6eb680, v191
	s_delay_alu instid0(VALU_DEP_1) | instskip(SKIP_2) | instid1(VALU_DEP_2)
	v_add_f32_e32 v161, v193, v161
	v_mul_f32_e32 v193, 0xbf7ee86f, v221
	v_fmac_f32_e32 v174, 0xbe8c1d8e, v196
	v_fma_f32 v194, 0x3dbcf732, v209, -v193
	v_fmac_f32_e32 v193, 0x3dbcf732, v209
	s_delay_alu instid0(VALU_DEP_3) | instskip(NEXT) | instid1(VALU_DEP_3)
	v_add_f32_e32 v79, v174, v79
	v_add_f32_e32 v160, v194, v160
	s_delay_alu instid0(VALU_DEP_2) | instskip(NEXT) | instid1(VALU_DEP_1)
	v_dual_mul_f32 v194, 0xbf7ee86f, v222 :: v_dual_add_f32 v79, v176, v79
	v_fmamk_f32 v204, v211, 0x3dbcf732, v194
	s_delay_alu instid0(VALU_DEP_1) | instskip(SKIP_1) | instid1(VALU_DEP_1)
	v_add_f32_e32 v161, v204, v161
	v_mul_f32_e32 v204, 0xbf06c442, v225
	v_fma_f32 v205, 0xbf59a7d5, v218, -v204
	v_fmac_f32_e32 v204, 0xbf59a7d5, v218
	s_delay_alu instid0(VALU_DEP_2) | instskip(NEXT) | instid1(VALU_DEP_1)
	v_dual_add_f32 v160, v205, v160 :: v_dual_mul_f32 v205, 0xbf06c442, v226
	v_fmamk_f32 v207, v219, 0xbf59a7d5, v205
	s_delay_alu instid0(VALU_DEP_1) | instskip(SKIP_3) | instid1(VALU_DEP_1)
	v_add_f32_e32 v161, v207, v161
	v_mul_f32_e32 v207, 0xbe3c28d5, v155
	ds_store_2addr_b64 v139, v[158:159], v[160:161] offset0:170 offset1:255
	v_fma_f32 v158, 0xbf7ba420, v69, -v207
	v_dual_fmac_f32 v207, 0xbf7ba420, v69 :: v_dual_add_f32 v158, v158, v202
	v_mul_f32_e32 v202, 0xbe3c28d5, v156
	s_delay_alu instid0(VALU_DEP_1) | instskip(NEXT) | instid1(VALU_DEP_1)
	v_fmamk_f32 v159, v71, 0xbf7ba420, v202
	v_add_f32_e32 v159, v159, v201
	v_mul_f32_e32 v201, 0x3f763a35, v157
	s_delay_alu instid0(VALU_DEP_1) | instskip(NEXT) | instid1(VALU_DEP_1)
	v_fma_f32 v160, 0xbe8c1d8e, v75, -v201
	v_dual_fmac_f32 v201, 0xbe8c1d8e, v75 :: v_dual_add_f32 v158, v160, v158
	v_fmamk_f32 v160, v81, 0xbe8c1d8e, v208
	s_delay_alu instid0(VALU_DEP_1) | instskip(SKIP_3) | instid1(VALU_DEP_3)
	v_add_f32_e32 v159, v160, v159
	v_fma_f32 v160, 0x3f6eb680, v83, -v213
	v_fmac_f32_e32 v213, 0x3f6eb680, v83
	v_fmac_f32_e32 v186, 0xbe8c1d8e, v83
	v_add_f32_e32 v158, v160, v158
	v_fmamk_f32 v160, v89, 0x3f6eb680, v214
	s_delay_alu instid0(VALU_DEP_1) | instskip(SKIP_1) | instid1(VALU_DEP_2)
	v_dual_add_f32 v74, v186, v74 :: v_dual_add_f32 v159, v160, v159
	v_fma_f32 v160, 0x3ee437d1, v148, -v223
	v_dual_fmac_f32 v223, 0x3ee437d1, v148 :: v_dual_add_f32 v74, v188, v74
	s_delay_alu instid0(VALU_DEP_2) | instskip(SKIP_1) | instid1(VALU_DEP_1)
	v_add_f32_e32 v158, v160, v158
	v_fmamk_f32 v160, v151, 0x3ee437d1, v224
	v_add_f32_e32 v159, v160, v159
	v_fma_f32 v160, 0xbf59a7d5, v196, -v227
	s_delay_alu instid0(VALU_DEP_1) | instskip(SKIP_1) | instid1(VALU_DEP_1)
	v_dual_fmac_f32 v227, 0xbf59a7d5, v196 :: v_dual_add_f32 v158, v160, v158
	v_fmamk_f32 v160, v197, 0xbf59a7d5, v228
	v_add_f32_e32 v159, v160, v159
	v_fma_f32 v160, 0xbf1a4643, v209, -v229
	s_delay_alu instid0(VALU_DEP_1) | instskip(SKIP_1) | instid1(VALU_DEP_1)
	v_dual_fmac_f32 v229, 0xbf1a4643, v209 :: v_dual_add_f32 v158, v160, v158
	v_fmamk_f32 v160, v211, 0xbf1a4643, v230
	v_add_f32_e32 v159, v160, v159
	v_fma_f32 v160, 0x3f3d2fb0, v218, -v231
	v_fmac_f32_e32 v231, 0x3f3d2fb0, v218
	s_delay_alu instid0(VALU_DEP_2) | instskip(SKIP_1) | instid1(VALU_DEP_1)
	v_add_f32_e32 v158, v160, v158
	v_fmamk_f32 v160, v219, 0x3f3d2fb0, v232
	v_add_f32_e32 v159, v160, v159
	v_fma_f32 v160, 0xbf59a7d5, v69, -v233
	s_delay_alu instid0(VALU_DEP_1) | instskip(SKIP_1) | instid1(VALU_DEP_1)
	v_dual_fmac_f32 v233, 0xbf59a7d5, v69 :: v_dual_add_f32 v160, v160, v200
	v_mul_f32_e32 v200, 0x3f06c442, v156
	v_dual_add_f32 v88, v233, v88 :: v_dual_fmamk_f32 v161, v71, 0xbf59a7d5, v200
	s_delay_alu instid0(VALU_DEP_1) | instskip(SKIP_1) | instid1(VALU_DEP_1)
	v_add_f32_e32 v161, v161, v199
	v_mul_f32_e32 v199, 0x3f2c7751, v157
	v_fma_f32 v234, 0x3f3d2fb0, v75, -v199
	s_delay_alu instid0(VALU_DEP_1) | instskip(SKIP_1) | instid1(VALU_DEP_1)
	v_add_f32_e32 v160, v234, v160
	v_mul_f32_e32 v234, 0x3f2c7751, v164
	v_fmamk_f32 v235, v81, 0x3f3d2fb0, v234
	s_delay_alu instid0(VALU_DEP_1) | instskip(SKIP_3) | instid1(VALU_DEP_3)
	v_add_f32_e32 v161, v235, v161
	v_mul_f32_e32 v235, 0xbf65296c, v165
	v_fmac_f32_e32 v190, 0x3f6eb680, v196
	v_fmac_f32_e32 v199, 0x3f3d2fb0, v75
	v_fma_f32 v236, 0x3ee437d1, v83, -v235
	s_delay_alu instid0(VALU_DEP_3) | instskip(NEXT) | instid1(VALU_DEP_3)
	v_add_f32_e32 v74, v190, v74
	v_dual_add_f32 v88, v199, v88 :: v_dual_fmac_f32 v235, 0x3ee437d1, v83
	s_delay_alu instid0(VALU_DEP_3) | instskip(SKIP_1) | instid1(VALU_DEP_4)
	v_add_f32_e32 v160, v236, v160
	v_mul_f32_e32 v236, 0xbf65296c, v192
	v_add_f32_e32 v74, v193, v74
	s_delay_alu instid0(VALU_DEP_2) | instskip(NEXT) | instid1(VALU_DEP_1)
	v_dual_add_f32 v88, v235, v88 :: v_dual_fmamk_f32 v237, v89, 0x3ee437d1, v236
	v_add_f32_e32 v161, v237, v161
	v_mul_f32_e32 v237, 0xbe3c28d5, v203
	s_delay_alu instid0(VALU_DEP_1) | instskip(SKIP_1) | instid1(VALU_DEP_2)
	v_fma_f32 v238, 0xbf7ba420, v148, -v237
	v_fmac_f32_e32 v237, 0xbf7ba420, v148
	v_add_f32_e32 v160, v238, v160
	v_mul_f32_e32 v238, 0xbe3c28d5, v206
	s_delay_alu instid0(VALU_DEP_1) | instskip(NEXT) | instid1(VALU_DEP_1)
	v_dual_add_f32 v88, v237, v88 :: v_dual_fmamk_f32 v239, v151, 0xbf7ba420, v238
	v_add_f32_e32 v161, v239, v161
	v_mul_f32_e32 v239, 0x3f7ee86f, v215
	s_delay_alu instid0(VALU_DEP_1) | instskip(NEXT) | instid1(VALU_DEP_1)
	v_fma_f32 v240, 0x3dbcf732, v196, -v239
	v_add_f32_e32 v160, v240, v160
	v_mul_f32_e32 v240, 0x3f7ee86f, v216
	v_fmac_f32_e32 v239, 0x3dbcf732, v196
	s_delay_alu instid0(VALU_DEP_1) | instskip(NEXT) | instid1(VALU_DEP_1)
	v_dual_fmamk_f32 v241, v197, 0x3dbcf732, v240 :: v_dual_add_f32 v88, v239, v88
	v_add_f32_e32 v161, v241, v161
	v_mul_f32_e32 v241, 0xbeb8f4ab, v221
	s_delay_alu instid0(VALU_DEP_1) | instskip(NEXT) | instid1(VALU_DEP_1)
	v_fma_f32 v242, 0x3f6eb680, v209, -v241
	v_add_f32_e32 v160, v242, v160
	v_mul_f32_e32 v242, 0xbeb8f4ab, v222
	v_fmac_f32_e32 v241, 0x3f6eb680, v209
	s_delay_alu instid0(VALU_DEP_1) | instskip(NEXT) | instid1(VALU_DEP_1)
	v_dual_fmamk_f32 v243, v211, 0x3f6eb680, v242 :: v_dual_add_f32 v88, v241, v88
	v_add_f32_e32 v161, v243, v161
	v_mul_f32_e32 v243, 0xbf4c4adb, v225
	s_delay_alu instid0(VALU_DEP_1) | instskip(NEXT) | instid1(VALU_DEP_1)
	v_fma_f32 v244, 0xbf1a4643, v218, -v243
	v_add_f32_e32 v160, v244, v160
	v_mul_f32_e32 v244, 0xbf4c4adb, v226
	v_fmac_f32_e32 v243, 0xbf1a4643, v218
	s_delay_alu instid0(VALU_DEP_2) | instskip(NEXT) | instid1(VALU_DEP_1)
	v_fmamk_f32 v245, v219, 0xbf1a4643, v244
	v_add_f32_e32 v161, v245, v161
	v_mul_f32_e32 v245, 0x3f763a35, v155
	ds_store_2addr_b64 v146, v[158:159], v[160:161] offset0:84 offset1:169
	v_fma_f32 v158, 0xbe8c1d8e, v69, -v245
	s_delay_alu instid0(VALU_DEP_1) | instskip(NEXT) | instid1(VALU_DEP_1)
	v_dual_add_f32 v158, v158, v183 :: v_dual_mul_f32 v183, 0x3f763a35, v156
	v_fmamk_f32 v159, v71, 0xbe8c1d8e, v183
	s_delay_alu instid0(VALU_DEP_1) | instskip(NEXT) | instid1(VALU_DEP_1)
	v_dual_add_f32 v159, v159, v182 :: v_dual_mul_f32 v182, 0xbeb8f4ab, v157
	v_fma_f32 v160, 0x3f6eb680, v75, -v182
	s_delay_alu instid0(VALU_DEP_1) | instskip(SKIP_2) | instid1(VALU_DEP_2)
	v_add_f32_e32 v158, v160, v158
	v_fmamk_f32 v160, v81, 0x3f6eb680, v246
	v_fmac_f32_e32 v245, 0xbe8c1d8e, v69
	v_add_f32_e32 v159, v160, v159
	v_fma_f32 v160, 0xbf59a7d5, v83, -v247
	s_delay_alu instid0(VALU_DEP_1) | instskip(SKIP_1) | instid1(VALU_DEP_1)
	v_dual_fmac_f32 v247, 0xbf59a7d5, v83 :: v_dual_add_f32 v158, v160, v158
	v_fmamk_f32 v160, v89, 0xbf59a7d5, v248
	v_add_f32_e32 v159, v160, v159
	v_fma_f32 v160, 0x3dbcf732, v148, -v249
	s_delay_alu instid0(VALU_DEP_1) | instskip(SKIP_2) | instid1(VALU_DEP_2)
	v_add_f32_e32 v158, v160, v158
	v_fmamk_f32 v160, v151, 0x3dbcf732, v250
	v_mul_f32_e32 v251, 0xbf2c7751, v215
	v_add_f32_e32 v159, v160, v159
	s_delay_alu instid0(VALU_DEP_2) | instskip(NEXT) | instid1(VALU_DEP_1)
	v_fma_f32 v160, 0x3f3d2fb0, v196, -v251
	v_add_f32_e32 v158, v160, v158
	v_dual_fmamk_f32 v160, v197, 0x3f3d2fb0, v252 :: v_dual_fmac_f32 v251, 0x3f3d2fb0, v196
	s_delay_alu instid0(VALU_DEP_1) | instskip(SKIP_1) | instid1(VALU_DEP_1)
	v_add_f32_e32 v159, v160, v159
	v_fma_f32 v160, 0xbf7ba420, v209, -v253
	v_dual_fmac_f32 v253, 0xbf7ba420, v209 :: v_dual_add_f32 v158, v160, v158
	v_fmamk_f32 v160, v211, 0xbf7ba420, v254
	s_delay_alu instid0(VALU_DEP_1) | instskip(SKIP_2) | instid1(VALU_DEP_2)
	v_add_f32_e32 v159, v160, v159
	v_fma_f32 v160, 0x3ee437d1, v218, -v255
	v_fmac_f32_e32 v255, 0x3ee437d1, v218
	v_add_f32_e32 v158, v160, v158
	v_fmamk_f32 v160, v219, 0x3ee437d1, v141
	s_delay_alu instid0(VALU_DEP_1) | instskip(SKIP_3) | instid1(VALU_DEP_3)
	v_add_f32_e32 v159, v160, v159
	v_fma_f32 v160, 0x3ee437d1, v69, -v142
	v_fmac_f32_e32 v182, 0x3f6eb680, v75
	v_fmac_f32_e32 v142, 0x3ee437d1, v69
	v_dual_add_f32 v160, v160, v163 :: v_dual_mul_f32 v163, 0x3f65296c, v156
	s_delay_alu instid0(VALU_DEP_1) | instskip(NEXT) | instid1(VALU_DEP_1)
	v_fmamk_f32 v161, v71, 0x3ee437d1, v163
	v_dual_add_f32 v161, v161, v162 :: v_dual_mul_f32 v162, 0xbf7ee86f, v157
	s_delay_alu instid0(VALU_DEP_1) | instskip(NEXT) | instid1(VALU_DEP_1)
	v_fma_f32 v104, 0x3dbcf732, v75, -v162
	v_add_f32_e32 v104, v104, v160
	v_fmamk_f32 v160, v81, 0x3dbcf732, v140
	s_delay_alu instid0(VALU_DEP_1) | instskip(SKIP_1) | instid1(VALU_DEP_1)
	v_add_f32_e32 v160, v160, v161
	v_fma_f32 v161, 0xbf1a4643, v83, -v143
	v_dual_fmac_f32 v143, 0xbf1a4643, v83 :: v_dual_add_f32 v104, v161, v104
	v_fmamk_f32 v161, v89, 0xbf1a4643, v144
	s_delay_alu instid0(VALU_DEP_1) | instskip(SKIP_2) | instid1(VALU_DEP_3)
	v_add_f32_e32 v160, v161, v160
	v_fma_f32 v161, 0x3f6eb680, v148, -v145
	v_fmac_f32_e32 v145, 0x3f6eb680, v148
	v_add_f32_e32 v93, v93, v160
	s_delay_alu instid0(VALU_DEP_3) | instskip(NEXT) | instid1(VALU_DEP_1)
	v_add_f32_e32 v104, v161, v104
	v_add_f32_e32 v95, v95, v104
	s_delay_alu instid0(VALU_DEP_1) | instskip(NEXT) | instid1(VALU_DEP_1)
	v_dual_mul_f32 v104, 0xbe3c28d5, v216 :: v_dual_add_f32 v95, v97, v95
	v_fmamk_f32 v160, v197, 0xbf7ba420, v104
	v_mul_f32_e32 v97, 0x3f2c7751, v222
	s_delay_alu instid0(VALU_DEP_1) | instskip(NEXT) | instid1(VALU_DEP_1)
	v_dual_add_f32 v93, v160, v93 :: v_dual_fmamk_f32 v160, v211, 0x3f3d2fb0, v97
	v_dual_add_f32 v93, v160, v93 :: v_dual_add_f32 v160, v99, v95
	v_mul_f32_e32 v95, 0xbf763a35, v226
	s_delay_alu instid0(VALU_DEP_1) | instskip(NEXT) | instid1(VALU_DEP_1)
	v_fmamk_f32 v99, v219, 0xbe8c1d8e, v95
	v_add_f32_e32 v161, v99, v93
	v_mul_f32_e32 v93, 0x3eb8f4ab, v155
	v_mul_f32_e32 v155, 0x3eb8f4ab, v156
	v_dual_mul_f32 v156, 0xbf06c442, v157 :: v_dual_mul_f32 v157, 0xbf06c442, v164
	ds_store_2addr_b64 v76, v[158:159], v[160:161] offset0:126 offset1:211
	v_fma_f32 v99, 0x3f6eb680, v69, -v93
	v_dual_mul_f32 v158, 0x3f2c7751, v165 :: v_dual_mul_f32 v159, 0x3f2c7751, v192
	v_dual_mul_f32 v160, 0xbf4c4adb, v203 :: v_dual_mul_f32 v161, 0xbf4c4adb, v206
	s_delay_alu instid0(VALU_DEP_3) | instskip(SKIP_3) | instid1(VALU_DEP_3)
	v_add_f32_e32 v99, v99, v154
	v_fmamk_f32 v154, v71, 0x3f6eb680, v155
	v_dual_mul_f32 v164, 0x3f65296c, v215 :: v_dual_mul_f32 v165, 0x3f65296c, v216
	v_dual_mul_f32 v192, 0xbf763a35, v221 :: v_dual_mul_f32 v203, 0xbf763a35, v222
	v_add_f32_e32 v153, v154, v153
	v_fma_f32 v154, 0xbf59a7d5, v75, -v156
	v_dual_mul_f32 v206, 0x3f7ee86f, v225 :: v_dual_mul_f32 v215, 0x3f7ee86f, v226
	v_fmac_f32_e32 v98, 0xbe8c1d8e, v218
	v_fmac_f32_e32 v249, 0x3dbcf732, v148
	s_delay_alu instid0(VALU_DEP_4) | instskip(SKIP_1) | instid1(VALU_DEP_2)
	v_dual_add_f32 v99, v154, v99 :: v_dual_fmamk_f32 v154, v81, 0xbf59a7d5, v157
	v_fmac_f32_e32 v96, 0x3f3d2fb0, v209
	v_add_f32_e32 v153, v154, v153
	v_fma_f32 v154, 0x3f3d2fb0, v83, -v158
	s_delay_alu instid0(VALU_DEP_1) | instskip(NEXT) | instid1(VALU_DEP_1)
	v_dual_add_f32 v99, v154, v99 :: v_dual_fmamk_f32 v154, v89, 0x3f3d2fb0, v159
	v_add_f32_e32 v153, v154, v153
	v_fma_f32 v154, 0xbf1a4643, v148, -v160
	s_delay_alu instid0(VALU_DEP_1) | instskip(NEXT) | instid1(VALU_DEP_1)
	v_dual_add_f32 v99, v154, v99 :: v_dual_fmamk_f32 v154, v151, 0xbf1a4643, v161
	v_dual_fmac_f32 v162, 0x3dbcf732, v75 :: v_dual_add_f32 v153, v154, v153
	v_fma_f32 v154, 0x3ee437d1, v196, -v164
	s_delay_alu instid0(VALU_DEP_1) | instskip(SKIP_1) | instid1(VALU_DEP_1)
	v_dual_fmac_f32 v164, 0x3ee437d1, v196 :: v_dual_add_f32 v99, v154, v99
	v_fmamk_f32 v154, v197, 0x3ee437d1, v165
	v_add_f32_e32 v153, v154, v153
	v_fma_f32 v154, 0xbe8c1d8e, v209, -v192
	v_fma_f32 v92, 0x3f6eb680, v151, -v92
	s_delay_alu instid0(VALU_DEP_2) | instskip(NEXT) | instid1(VALU_DEP_1)
	v_dual_add_f32 v99, v154, v99 :: v_dual_fmamk_f32 v154, v211, 0xbe8c1d8e, v203
	v_add_f32_e32 v154, v154, v153
	v_fma_f32 v153, 0x3dbcf732, v218, -v206
	s_delay_alu instid0(VALU_DEP_1) | instskip(SKIP_1) | instid1(VALU_DEP_1)
	v_dual_fmac_f32 v206, 0x3dbcf732, v218 :: v_dual_add_f32 v153, v153, v99
	v_fmamk_f32 v99, v219, 0x3dbcf732, v215
	v_add_f32_e32 v154, v99, v154
	v_fma_f32 v99, 0x3f6eb680, v71, -v155
	s_delay_alu instid0(VALU_DEP_1) | instskip(SKIP_1) | instid1(VALU_DEP_1)
	v_add_f32_e32 v99, v99, v149
	v_fma_f32 v149, 0xbf59a7d5, v81, -v157
	v_add_f32_e32 v99, v149, v99
	v_fma_f32 v149, 0x3f3d2fb0, v89, -v159
	v_fmac_f32_e32 v158, 0x3f3d2fb0, v83
	s_delay_alu instid0(VALU_DEP_2) | instskip(SKIP_1) | instid1(VALU_DEP_1)
	v_add_f32_e32 v99, v149, v99
	v_fma_f32 v149, 0xbf1a4643, v151, -v161
	v_add_f32_e32 v99, v149, v99
	v_fma_f32 v149, 0x3ee437d1, v197, -v165
	s_delay_alu instid0(VALU_DEP_1) | instskip(SKIP_1) | instid1(VALU_DEP_1)
	v_add_f32_e32 v99, v149, v99
	v_fma_f32 v149, 0xbe8c1d8e, v211, -v203
	v_dual_fmac_f32 v160, 0xbf1a4643, v148 :: v_dual_add_f32 v99, v149, v99
	v_fmac_f32_e32 v93, 0x3f6eb680, v69
	v_fma_f32 v69, 0x3f3d2fb0, v71, -v72
	s_delay_alu instid0(VALU_DEP_2) | instskip(SKIP_1) | instid1(VALU_DEP_3)
	v_add_f32_e32 v93, v93, v150
	v_fma_f32 v150, 0x3dbcf732, v219, -v215
	v_dual_fmac_f32 v94, 0xbf7ba420, v196 :: v_dual_add_f32 v67, v69, v67
	s_delay_alu instid0(VALU_DEP_2) | instskip(SKIP_1) | instid1(VALU_DEP_1)
	v_add_f32_e32 v150, v150, v99
	v_fma_f32 v99, 0xbe8c1d8e, v71, -v183
	v_dual_fmac_f32 v192, 0xbe8c1d8e, v209 :: v_dual_add_f32 v99, v99, v136
	v_fmac_f32_e32 v156, 0xbf59a7d5, v75
	v_fma_f32 v136, 0x3f6eb680, v81, -v246
	s_delay_alu instid0(VALU_DEP_2) | instskip(NEXT) | instid1(VALU_DEP_1)
	v_add_f32_e32 v93, v156, v93
	v_add_f32_e32 v93, v158, v93
	s_delay_alu instid0(VALU_DEP_1) | instskip(NEXT) | instid1(VALU_DEP_1)
	v_add_f32_e32 v93, v160, v93
	v_add_f32_e32 v93, v164, v93
	s_delay_alu instid0(VALU_DEP_1) | instskip(NEXT) | instid1(VALU_DEP_1)
	v_add_f32_e32 v93, v192, v93
	v_add_f32_e32 v149, v206, v93
	;; [unrolled: 1-line block ×3, first 2 shown]
	v_fma_f32 v137, 0x3ee437d1, v219, -v141
	ds_store_2addr_b64 v85, v[153:154], v[149:150] offset0:168 offset1:253
	v_add_f32_e32 v93, v182, v93
	s_delay_alu instid0(VALU_DEP_1) | instskip(NEXT) | instid1(VALU_DEP_1)
	v_add_f32_e32 v93, v247, v93
	v_add_f32_e32 v93, v249, v93
	s_delay_alu instid0(VALU_DEP_1) | instskip(NEXT) | instid1(VALU_DEP_1)
	v_add_f32_e32 v93, v251, v93
	v_add_f32_e32 v93, v253, v93
	v_add_f32_e32 v99, v136, v99
	v_fma_f32 v136, 0xbf59a7d5, v89, -v248
	s_delay_alu instid0(VALU_DEP_1) | instskip(SKIP_1) | instid1(VALU_DEP_1)
	v_add_f32_e32 v99, v136, v99
	v_fma_f32 v136, 0x3dbcf732, v151, -v250
	v_add_f32_e32 v99, v136, v99
	v_fma_f32 v136, 0x3f3d2fb0, v197, -v252
	s_delay_alu instid0(VALU_DEP_1) | instskip(SKIP_1) | instid1(VALU_DEP_1)
	v_add_f32_e32 v99, v136, v99
	v_fma_f32 v136, 0xbf7ba420, v211, -v254
	v_dual_add_f32 v99, v136, v99 :: v_dual_add_f32 v136, v255, v93
	v_add_f32_e32 v93, v142, v135
	s_delay_alu instid0(VALU_DEP_2) | instskip(SKIP_1) | instid1(VALU_DEP_3)
	v_add_f32_e32 v137, v137, v99
	v_fma_f32 v99, 0x3ee437d1, v71, -v163
	v_add_f32_e32 v93, v162, v93
	s_delay_alu instid0(VALU_DEP_2) | instskip(SKIP_1) | instid1(VALU_DEP_3)
	v_add_f32_e32 v99, v99, v134
	v_fma_f32 v134, 0x3dbcf732, v81, -v140
	;; [unrolled: 4-line block ×3, first 2 shown]
	v_add_f32_e32 v93, v145, v93
	s_delay_alu instid0(VALU_DEP_2) | instskip(NEXT) | instid1(VALU_DEP_2)
	v_add_f32_e32 v99, v134, v99
	v_add_f32_e32 v93, v94, v93
	v_fma_f32 v94, 0xbf7ba420, v197, -v104
	s_delay_alu instid0(VALU_DEP_3) | instskip(NEXT) | instid1(VALU_DEP_1)
	v_add_f32_e32 v92, v92, v99
	v_dual_add_f32 v93, v96, v93 :: v_dual_add_f32 v92, v94, v92
	v_fma_f32 v94, 0x3f3d2fb0, v211, -v97
	s_delay_alu instid0(VALU_DEP_1) | instskip(SKIP_1) | instid1(VALU_DEP_1)
	v_add_f32_e32 v92, v94, v92
	v_fma_f32 v94, 0xbe8c1d8e, v219, -v95
	v_add_f32_e32 v135, v94, v92
	v_add_f32_e32 v134, v98, v93
	v_fma_f32 v93, 0xbf7ba420, v71, -v202
	v_add_f32_e32 v92, v207, v133
	ds_store_2addr_b64 v77, v[134:135], v[136:137] offset0:82 offset1:167
	v_add_f32_e32 v91, v93, v91
	v_fma_f32 v93, 0xbe8c1d8e, v81, -v208
	v_add_f32_e32 v92, v201, v92
	s_delay_alu instid0(VALU_DEP_2) | instskip(SKIP_1) | instid1(VALU_DEP_3)
	v_add_f32_e32 v91, v93, v91
	v_fma_f32 v93, 0x3f6eb680, v89, -v214
	v_add_f32_e32 v92, v213, v92
	s_delay_alu instid0(VALU_DEP_2) | instskip(SKIP_1) | instid1(VALU_DEP_1)
	v_add_f32_e32 v91, v93, v91
	v_fma_f32 v93, 0x3ee437d1, v151, -v224
	v_dual_add_f32 v92, v223, v92 :: v_dual_add_f32 v91, v93, v91
	v_fma_f32 v93, 0xbf59a7d5, v197, -v228
	s_delay_alu instid0(VALU_DEP_1) | instskip(NEXT) | instid1(VALU_DEP_1)
	v_dual_add_f32 v92, v227, v92 :: v_dual_add_f32 v91, v93, v91
	v_add_f32_e32 v92, v229, v92
	v_fma_f32 v93, 0xbf1a4643, v211, -v230
	s_delay_alu instid0(VALU_DEP_2) | instskip(NEXT) | instid1(VALU_DEP_2)
	v_add_f32_e32 v133, v231, v92
	v_add_f32_e32 v91, v93, v91
	v_fma_f32 v93, 0x3f3d2fb0, v219, -v232
	v_fma_f32 v92, 0xbf1a4643, v219, -v244
	s_delay_alu instid0(VALU_DEP_2) | instskip(SKIP_1) | instid1(VALU_DEP_1)
	v_add_f32_e32 v134, v93, v91
	v_fma_f32 v91, 0xbf59a7d5, v71, -v200
	v_add_f32_e32 v87, v91, v87
	v_fma_f32 v91, 0x3f3d2fb0, v81, -v234
	s_delay_alu instid0(VALU_DEP_1) | instskip(SKIP_1) | instid1(VALU_DEP_1)
	v_add_f32_e32 v87, v91, v87
	v_fma_f32 v91, 0x3ee437d1, v89, -v236
	v_add_f32_e32 v87, v91, v87
	v_fma_f32 v91, 0xbf7ba420, v151, -v238
	s_delay_alu instid0(VALU_DEP_1) | instskip(SKIP_1) | instid1(VALU_DEP_1)
	v_add_f32_e32 v87, v91, v87
	v_fma_f32 v91, 0x3dbcf732, v197, -v240
	v_add_f32_e32 v87, v91, v87
	v_fma_f32 v91, 0x3f6eb680, v211, -v242
	s_delay_alu instid0(VALU_DEP_1) | instskip(NEXT) | instid1(VALU_DEP_1)
	v_add_f32_e32 v91, v91, v87
	v_dual_add_f32 v87, v243, v88 :: v_dual_add_f32 v88, v92, v91
	ds_store_2addr_b64 v147, v[87:88], v[133:134] offset0:124 offset1:209
	v_fma_f32 v87, 0x3dbcf732, v71, -v167
	v_fma_f32 v88, 0x3f6eb680, v219, -v179
	s_delay_alu instid0(VALU_DEP_2) | instskip(SKIP_1) | instid1(VALU_DEP_1)
	v_add_f32_e32 v78, v87, v78
	v_fma_f32 v87, 0xbf1a4643, v81, -v169
	v_add_f32_e32 v78, v87, v78
	v_fma_f32 v87, 0xbf7ba420, v89, -v171
	s_delay_alu instid0(VALU_DEP_1) | instskip(SKIP_1) | instid1(VALU_DEP_1)
	v_add_f32_e32 v78, v87, v78
	v_fma_f32 v87, 0xbf59a7d5, v151, -v173
	v_add_f32_e32 v78, v87, v78
	v_fma_f32 v87, 0xbe8c1d8e, v197, -v175
	s_delay_alu instid0(VALU_DEP_1) | instskip(SKIP_1) | instid1(VALU_DEP_1)
	v_add_f32_e32 v78, v87, v78
	v_fma_f32 v87, 0x3ee437d1, v211, -v177
	v_dual_add_f32 v87, v87, v78 :: v_dual_add_f32 v78, v178, v79
	s_delay_alu instid0(VALU_DEP_1) | instskip(SKIP_3) | instid1(VALU_DEP_3)
	v_add_f32_e32 v79, v88, v87
	v_fma_f32 v87, 0xbf1a4643, v71, -v181
	v_fma_f32 v71, 0x3ee437d1, v81, -v82
	;; [unrolled: 1-line block ×3, first 2 shown]
	v_add_f32_e32 v73, v87, v73
	v_fma_f32 v87, 0xbf7ba420, v81, -v185
	s_delay_alu instid0(VALU_DEP_4) | instskip(NEXT) | instid1(VALU_DEP_2)
	v_add_f32_e32 v67, v71, v67
	v_add_f32_e32 v73, v87, v73
	v_fma_f32 v87, 0xbe8c1d8e, v89, -v187
	s_delay_alu instid0(VALU_DEP_3) | instskip(SKIP_1) | instid1(VALU_DEP_3)
	v_add_f32_e32 v67, v68, v67
	v_fma_f32 v68, 0xbe8c1d8e, v151, -v152
	v_add_f32_e32 v73, v87, v73
	v_fma_f32 v87, 0x3f3d2fb0, v151, -v189
	s_delay_alu instid0(VALU_DEP_3) | instskip(SKIP_1) | instid1(VALU_DEP_3)
	v_add_f32_e32 v67, v68, v67
	v_fma_f32 v68, 0xbf1a4643, v197, -v198
	;; [unrolled: 5-line block ×4, first 2 shown]
	v_add_f32_e32 v87, v87, v73
	v_add_f32_e32 v73, v204, v74
	s_delay_alu instid0(VALU_DEP_3) | instskip(NEXT) | instid1(VALU_DEP_3)
	v_add_f32_e32 v67, v68, v67
	v_add_f32_e32 v74, v88, v87
	ds_store_b64 v139, v[66:67] offset:10880
	ds_store_2addr_b64 v86, v[73:74], v[78:79] offset0:166 offset1:251
	global_wb scope:SCOPE_SE
	s_wait_dscnt 0x0
	s_barrier_signal -1
	s_barrier_wait -1
	global_inv scope:SCOPE_SE
	s_clause 0x3
	global_load_b64 v[68:69], v[64:65], off offset:11560
	global_load_b64 v[70:71], v139, s[2:3] offset:680
	global_load_b64 v[72:73], v139, s[2:3] offset:2040
	global_load_b64 v[74:75], v139, s[2:3] offset:3400
	ds_load_2addr_b64 v[64:67], v139 offset1:85
	s_wait_loadcnt_dscnt 0x300
	v_mul_f32_e32 v78, v65, v69
	v_mul_f32_e32 v79, v64, v69
	s_delay_alu instid0(VALU_DEP_2) | instskip(SKIP_1) | instid1(VALU_DEP_2)
	v_fma_f32 v78, v64, v68, -v78
	s_wait_loadcnt 0x2
	v_dual_fmac_f32 v79, v65, v68 :: v_dual_mul_f32 v64, v67, v71
	v_mul_f32_e32 v65, v66, v71
	s_delay_alu instid0(VALU_DEP_2) | instskip(NEXT) | instid1(VALU_DEP_2)
	v_fma_f32 v64, v66, v70, -v64
	v_fmac_f32_e32 v65, v67, v70
	ds_store_2addr_b64 v139, v[78:79], v[64:65] offset1:85
	s_clause 0x2
	global_load_b64 v[68:69], v139, s[2:3] offset:1360
	global_load_b64 v[70:71], v139, s[2:3] offset:2720
	;; [unrolled: 1-line block ×3, first 2 shown]
	ds_load_b64 v[80:81], v139 offset:10880
	ds_load_2addr_b64 v[64:67], v139 offset0:170 offset1:255
	s_wait_loadcnt_dscnt 0x200
	v_mul_f32_e32 v82, v65, v69
	v_mul_f32_e32 v83, v64, v69
	;; [unrolled: 1-line block ×3, first 2 shown]
	s_delay_alu instid0(VALU_DEP_3) | instskip(NEXT) | instid1(VALU_DEP_3)
	v_fma_f32 v82, v64, v68, -v82
	v_dual_mul_f32 v64, v67, v73 :: v_dual_fmac_f32 v83, v65, v68
	s_delay_alu instid0(VALU_DEP_3) | instskip(NEXT) | instid1(VALU_DEP_2)
	v_fmac_f32_e32 v69, v67, v72
	v_fma_f32 v68, v66, v72, -v64
	ds_load_2addr_b64 v[64:67], v146 offset0:84 offset1:169
	s_wait_loadcnt_dscnt 0x100
	v_mul_f32_e32 v72, v65, v71
	v_mul_f32_e32 v73, v64, v71
	;; [unrolled: 1-line block ×3, first 2 shown]
	s_delay_alu instid0(VALU_DEP_3) | instskip(NEXT) | instid1(VALU_DEP_3)
	v_fma_f32 v72, v64, v70, -v72
	v_dual_mul_f32 v64, v67, v75 :: v_dual_fmac_f32 v73, v65, v70
	s_delay_alu instid0(VALU_DEP_3) | instskip(NEXT) | instid1(VALU_DEP_2)
	v_fmac_f32_e32 v71, v67, v74
	v_fma_f32 v70, v66, v74, -v64
	ds_load_2addr_b64 v[64:67], v76 offset0:126 offset1:211
	s_wait_loadcnt_dscnt 0x0
	v_mul_f32_e32 v74, v65, v79
	v_mul_f32_e32 v75, v64, v79
	s_delay_alu instid0(VALU_DEP_2) | instskip(NEXT) | instid1(VALU_DEP_2)
	v_fma_f32 v74, v64, v78, -v74
	v_fmac_f32_e32 v75, v65, v78
	s_clause 0x3
	global_load_b64 v[64:65], v139, s[2:3] offset:4760
	global_load_b64 v[78:79], v139, s[2:3] offset:5440
	global_load_b64 v[87:88], v139, s[2:3] offset:6120
	global_load_b64 v[89:90], v139, s[2:3] offset:6800
	s_wait_loadcnt 0x3
	v_mul_f32_e32 v91, v67, v65
	v_mul_f32_e32 v134, v66, v65
	s_delay_alu instid0(VALU_DEP_2) | instskip(NEXT) | instid1(VALU_DEP_2)
	v_fma_f32 v133, v66, v64, -v91
	v_fmac_f32_e32 v134, v67, v64
	ds_load_2addr_b64 v[64:67], v85 offset0:168 offset1:253
	s_wait_loadcnt_dscnt 0x200
	v_mul_f32_e32 v91, v65, v79
	s_wait_loadcnt 0x1
	v_dual_mul_f32 v136, v64, v79 :: v_dual_mul_f32 v79, v66, v88
	s_delay_alu instid0(VALU_DEP_2) | instskip(SKIP_1) | instid1(VALU_DEP_3)
	v_fma_f32 v135, v64, v78, -v91
	v_mul_f32_e32 v64, v67, v88
	v_dual_fmac_f32 v136, v65, v78 :: v_dual_fmac_f32 v79, v67, v87
	s_delay_alu instid0(VALU_DEP_2) | instskip(SKIP_4) | instid1(VALU_DEP_2)
	v_fma_f32 v78, v66, v87, -v64
	ds_load_2addr_b64 v[64:67], v77 offset0:82 offset1:167
	s_wait_loadcnt_dscnt 0x0
	v_mul_f32_e32 v87, v65, v90
	v_mul_f32_e32 v88, v64, v90
	v_fma_f32 v87, v64, v89, -v87
	s_delay_alu instid0(VALU_DEP_2)
	v_fmac_f32_e32 v88, v65, v89
	s_clause 0x3
	global_load_b64 v[64:65], v139, s[2:3] offset:7480
	global_load_b64 v[89:90], v139, s[2:3] offset:8160
	;; [unrolled: 1-line block ×4, first 2 shown]
	s_wait_loadcnt 0x3
	v_mul_f32_e32 v91, v67, v65
	v_mul_f32_e32 v151, v66, v65
	s_delay_alu instid0(VALU_DEP_2) | instskip(NEXT) | instid1(VALU_DEP_2)
	v_fma_f32 v150, v66, v64, -v91
	v_fmac_f32_e32 v151, v67, v64
	ds_load_2addr_b64 v[64:67], v147 offset0:124 offset1:209
	s_wait_loadcnt_dscnt 0x200
	v_mul_f32_e32 v91, v65, v90
	v_mul_f32_e32 v153, v64, v90
	s_wait_loadcnt 0x1
	v_mul_f32_e32 v90, v66, v138
	s_delay_alu instid0(VALU_DEP_3) | instskip(NEXT) | instid1(VALU_DEP_3)
	v_fma_f32 v152, v64, v89, -v91
	v_dual_mul_f32 v64, v67, v138 :: v_dual_fmac_f32 v153, v65, v89
	s_delay_alu instid0(VALU_DEP_3) | instskip(NEXT) | instid1(VALU_DEP_2)
	v_fmac_f32_e32 v90, v67, v137
	v_fma_f32 v89, v66, v137, -v64
	ds_load_2addr_b64 v[64:67], v86 offset0:166 offset1:251
	s_wait_loadcnt_dscnt 0x0
	v_mul_f32_e32 v91, v65, v149
	v_mul_f32_e32 v138, v64, v149
	s_delay_alu instid0(VALU_DEP_2) | instskip(NEXT) | instid1(VALU_DEP_2)
	v_fma_f32 v137, v64, v148, -v91
	v_fmac_f32_e32 v138, v65, v148
	s_clause 0x1
	global_load_b64 v[64:65], v139, s[2:3] offset:10200
	global_load_b64 v[148:149], v139, s[2:3] offset:10880
	ds_store_2addr_b64 v139, v[82:83], v[68:69] offset0:170 offset1:255
	ds_store_2addr_b64 v146, v[72:73], v[70:71] offset0:84 offset1:169
	;; [unrolled: 1-line block ×3, first 2 shown]
	s_wait_loadcnt 0x1
	v_mul_f32_e32 v91, v67, v65
	v_mul_f32_e32 v155, v66, v65
	s_wait_loadcnt 0x0
	v_mul_f32_e32 v65, v80, v149
	s_delay_alu instid0(VALU_DEP_3) | instskip(NEXT) | instid1(VALU_DEP_3)
	v_fma_f32 v154, v66, v64, -v91
	v_dual_fmac_f32 v155, v67, v64 :: v_dual_mul_f32 v64, v81, v149
	s_delay_alu instid0(VALU_DEP_3) | instskip(NEXT) | instid1(VALU_DEP_2)
	v_fmac_f32_e32 v65, v81, v148
	v_fma_f32 v64, v80, v148, -v64
	ds_store_2addr_b64 v85, v[135:136], v[78:79] offset0:168 offset1:253
	ds_store_2addr_b64 v77, v[87:88], v[150:151] offset0:82 offset1:167
	;; [unrolled: 1-line block ×4, first 2 shown]
	ds_store_b64 v139, v[64:65] offset:10880
	global_wb scope:SCOPE_SE
	s_wait_dscnt 0x0
	s_barrier_signal -1
	s_barrier_wait -1
	global_inv scope:SCOPE_SE
	ds_load_2addr_b64 v[64:67], v139 offset1:85
	ds_load_2addr_b64 v[68:71], v139 offset0:170 offset1:255
	ds_load_2addr_b64 v[80:83], v76 offset0:126 offset1:211
	;; [unrolled: 1-line block ×5, first 2 shown]
	s_wait_dscnt 0x5
	v_dual_add_f32 v72, v64, v66 :: v_dual_add_f32 v73, v65, v67
	s_wait_dscnt 0x2
	v_dual_sub_f32 v201, v156, v158 :: v_dual_add_f32 v204, v158, v156
	s_delay_alu instid0(VALU_DEP_2) | instskip(NEXT) | instid1(VALU_DEP_2)
	v_dual_add_f32 v72, v72, v68 :: v_dual_add_f32 v73, v73, v69
	v_mul_f32_e32 v190, 0xbf59a7d5, v204
	s_delay_alu instid0(VALU_DEP_2)
	v_dual_add_f32 v78, v72, v70 :: v_dual_add_f32 v79, v73, v71
	ds_load_2addr_b64 v[72:75], v146 offset0:84 offset1:169
	v_mul_f32_e32 v254, 0xbe8c1d8e, v204
	s_wait_dscnt 0x0
	v_dual_add_f32 v78, v78, v72 :: v_dual_add_f32 v79, v79, v73
	v_dual_sub_f32 v137, v75, v150 :: v_dual_add_f32 v136, v150, v75
	v_sub_f32_e32 v148, v73, v152
	s_delay_alu instid0(VALU_DEP_3) | instskip(SKIP_2) | instid1(VALU_DEP_3)
	v_dual_add_f32 v78, v78, v74 :: v_dual_add_f32 v79, v79, v75
	v_dual_add_f32 v138, v152, v73 :: v_dual_add_f32 v73, v149, v74
	v_sub_f32_e32 v74, v74, v149
	v_add_f32_e32 v76, v78, v80
	s_delay_alu instid0(VALU_DEP_4) | instskip(SKIP_3) | instid1(VALU_DEP_4)
	v_add_f32_e32 v78, v79, v81
	v_mul_f32_e32 v184, 0x3f3d2fb0, v136
	v_mul_f32_e32 v200, 0xbf59a7d5, v136
	;; [unrolled: 1-line block ×3, first 2 shown]
	v_dual_add_f32 v88, v76, v82 :: v_dual_add_f32 v89, v78, v83
	ds_load_2addr_b64 v[76:79], v77 offset0:82 offset1:167
	v_mul_f32_e32 v182, 0xbe8c1d8e, v138
	v_mul_f32_e32 v220, 0xbf65296c, v148
	v_dual_add_f32 v88, v88, v155 :: v_dual_add_f32 v89, v89, v156
	v_mul_f32_e32 v233, 0xbf59a7d5, v138
	v_mul_f32_e32 v221, 0x3ee437d1, v138
	;; [unrolled: 1-line block ×3, first 2 shown]
	s_delay_alu instid0(VALU_DEP_4)
	v_dual_add_f32 v88, v88, v157 :: v_dual_add_f32 v89, v89, v158
	s_wait_dscnt 0x0
	v_dual_mul_f32 v235, 0x3dbcf732, v136 :: v_dual_sub_f32 v90, v81, v79
	v_add_f32_e32 v91, v79, v81
	v_sub_f32_e32 v133, v83, v77
	v_add_f32_e32 v81, v76, v82
	v_dual_add_f32 v83, v77, v83 :: v_dual_sub_f32 v82, v82, v76
	v_dual_add_f32 v76, v88, v76 :: v_dual_add_f32 v77, v89, v77
	v_dual_add_f32 v87, v78, v80 :: v_dual_sub_f32 v80, v80, v78
	v_mul_f32_e32 v202, 0x3f763a35, v90
	s_delay_alu instid0(VALU_DEP_3) | instskip(SKIP_2) | instid1(VALU_DEP_3)
	v_dual_add_f32 v78, v76, v78 :: v_dual_add_f32 v77, v77, v79
	v_add_f32_e32 v76, v151, v72
	v_dual_sub_f32 v72, v72, v151 :: v_dual_mul_f32 v185, 0xbeb8f4ab, v90
	v_add_f32_e32 v75, v78, v149
	s_delay_alu instid0(VALU_DEP_4) | instskip(SKIP_1) | instid1(VALU_DEP_2)
	v_dual_add_f32 v77, v77, v150 :: v_dual_add_f32 v150, v162, v69
	v_add_f32_e32 v149, v160, v71
	v_dual_add_f32 v78, v75, v151 :: v_dual_add_f32 v77, v77, v152
	v_sub_f32_e32 v152, v69, v162
	v_add_f32_e32 v69, v161, v68
	v_sub_f32_e32 v75, v68, v161
	v_sub_f32_e32 v151, v71, v160
	v_add_f32_e32 v68, v159, v70
	v_sub_f32_e32 v70, v70, v159
	v_add_f32_e32 v71, v78, v159
	v_add_f32_e32 v77, v77, v160
	ds_load_b64 v[159:160], v139 offset:10880
	v_mul_f32_e32 v191, 0xbf7ee86f, v152
	v_mul_f32_e32 v156, 0x3f3d2fb0, v150
	v_dual_add_f32 v92, v71, v161 :: v_dual_add_f32 v93, v77, v162
	v_mul_f32_e32 v197, 0xbe3c28d5, v148
	v_mul_f32_e32 v192, 0x3dbcf732, v150
	global_wb scope:SCOPE_SE
	s_wait_dscnt 0x0
	s_barrier_signal -1
	s_barrier_wait -1
	global_inv scope:SCOPE_SE
	v_mul_f32_e32 v229, 0xbe8c1d8e, v150
	v_sub_f32_e32 v71, v67, v160
	v_add_f32_e32 v77, v159, v66
	v_add_f32_e32 v67, v160, v67
	v_sub_f32_e32 v66, v66, v159
	v_add_f32_e32 v208, v92, v159
	v_mul_f32_e32 v134, 0xbf06c442, v71
	v_mul_f32_e32 v159, 0xbf7ee86f, v148
	;; [unrolled: 1-line block ×5, first 2 shown]
	v_fmamk_f32 v141, v77, 0xbf59a7d5, v134
	v_mul_f32_e32 v145, 0x3ee437d1, v67
	v_fmamk_f32 v168, v66, 0x3f06c442, v165
	v_fmamk_f32 v169, v66, 0x3e3c28d5, v166
	v_fmac_f32_e32 v166, 0xbe3c28d5, v66
	v_add_f32_e32 v176, v64, v141
	v_mul_f32_e32 v104, 0xbf4c4adb, v71
	v_mul_f32_e32 v78, 0xbeb8f4ab, v71
	;; [unrolled: 1-line block ×7, first 2 shown]
	v_fmamk_f32 v140, v77, 0xbf1a4643, v104
	v_fma_f32 v104, 0xbf1a4643, v77, -v104
	v_add_f32_e32 v175, v65, v168
	v_dual_add_f32 v168, v65, v166 :: v_dual_fmamk_f32 v161, v66, 0x3f7ee86f, v154
	v_fmac_f32_e32 v154, 0xbf7ee86f, v66
	s_delay_alu instid0(VALU_DEP_4)
	v_add_f32_e32 v174, v64, v104
	v_fma_f32 v142, 0xbf59a7d5, v77, -v134
	v_fmamk_f32 v143, v77, 0xbf7ba420, v71
	v_dual_fmamk_f32 v89, v77, 0x3f3d2fb0, v88 :: v_dual_mul_f32 v134, 0x3f3d2fb0, v67
	v_fmamk_f32 v79, v77, 0x3f6eb680, v78
	v_fma_f32 v88, 0x3f3d2fb0, v77, -v88
	v_fma_f32 v144, 0xbf7ba420, v77, -v71
	v_mul_f32_e32 v71, 0x3f6eb680, v67
	v_add_f32_e32 v172, v64, v143
	v_dual_add_f32 v178, v64, v89 :: v_dual_fmamk_f32 v135, v66, 0x3f2c7751, v134
	v_fma_f32 v78, 0x3f6eb680, v77, -v78
	v_fmamk_f32 v95, v77, 0x3ee437d1, v94
	v_fma_f32 v94, 0x3ee437d1, v77, -v94
	v_fmamk_f32 v97, v77, 0x3dbcf732, v96
	v_fma_f32 v96, 0x3dbcf732, v77, -v96
	v_mul_f32_e32 v162, 0xbe8c1d8e, v67
	v_mul_f32_e32 v164, 0xbf1a4643, v67
	v_add_f32_e32 v179, v65, v135
	v_dual_add_f32 v135, v64, v88 :: v_dual_add_f32 v88, v65, v154
	v_add_f32_e32 v154, v64, v142
	v_dual_add_f32 v170, v64, v79 :: v_dual_fmamk_f32 v99, v77, 0xbe8c1d8e, v98
	v_fma_f32 v98, 0xbe8c1d8e, v77, -v98
	v_fmamk_f32 v77, v66, 0x3eb8f4ab, v71
	v_fmac_f32_e32 v71, 0xbeb8f4ab, v66
	v_fmac_f32_e32 v134, 0xbf2c7751, v66
	v_fmamk_f32 v163, v66, 0x3f763a35, v162
	v_fmac_f32_e32 v162, 0xbf763a35, v66
	v_fmamk_f32 v167, v66, 0x3f4c4adb, v164
	v_fmac_f32_e32 v164, 0xbf4c4adb, v66
	v_fmac_f32_e32 v165, 0xbf06c442, v66
	v_add_f32_e32 v177, v65, v77
	v_add_f32_e32 v77, v64, v94
	v_dual_add_f32 v94, v64, v97 :: v_dual_fmamk_f32 v153, v66, 0x3f65296c, v145
	v_fmac_f32_e32 v145, 0xbf65296c, v66
	v_dual_add_f32 v66, v64, v78 :: v_dual_add_f32 v67, v65, v71
	v_mul_f32_e32 v158, 0x3ee437d1, v149
	v_add_f32_e32 v134, v65, v134
	v_add_f32_e32 v180, v65, v153
	;; [unrolled: 1-line block ×6, first 2 shown]
	v_dual_add_f32 v173, v65, v164 :: v_dual_mul_f32 v166, 0xbf59a7d5, v83
	v_add_f32_e32 v171, v65, v169
	v_add_f32_e32 v169, v64, v144
	v_dual_add_f32 v209, v93, v160 :: v_dual_mul_f32 v160, 0x3dbcf732, v138
	v_add_f32_e32 v97, v65, v161
	v_mul_f32_e32 v161, 0xbf763a35, v137
	v_dual_add_f32 v95, v64, v95 :: v_dual_mul_f32 v162, 0xbe8c1d8e, v136
	v_add_f32_e32 v89, v64, v96
	v_add_f32_e32 v96, v64, v99
	;; [unrolled: 1-line block ×4, first 2 shown]
	v_mul_f32_e32 v164, 0xbf1a4643, v91
	v_add_f32_e32 v193, v65, v167
	v_mul_f32_e32 v167, 0xbe3c28d5, v201
	v_add_f32_e32 v153, v65, v165
	v_sub_f32_e32 v65, v155, v157
	v_mul_f32_e32 v155, 0xbf2c7751, v152
	v_mul_f32_e32 v157, 0xbf65296c, v151
	v_fmamk_f32 v93, v75, 0x3f2c7751, v156
	v_dual_mul_f32 v194, 0xbf4c4adb, v151 :: v_dual_mul_f32 v163, 0xbf4c4adb, v90
	s_delay_alu instid0(VALU_DEP_4) | instskip(NEXT) | instid1(VALU_DEP_3)
	v_fmamk_f32 v92, v69, 0x3f3d2fb0, v155
	v_dual_fmamk_f32 v98, v68, 0x3ee437d1, v157 :: v_dual_add_f32 v93, v93, v177
	v_mul_f32_e32 v165, 0xbf06c442, v133
	s_delay_alu instid0(VALU_DEP_3) | instskip(SKIP_3) | instid1(VALU_DEP_4)
	v_dual_mul_f32 v199, 0x3f06c442, v137 :: v_dual_add_f32 v92, v92, v170
	v_mul_f32_e32 v170, 0xbf7ba420, v204
	v_mul_f32_e32 v195, 0xbf1a4643, v149
	;; [unrolled: 1-line block ×3, first 2 shown]
	v_dual_mul_f32 v203, 0xbe8c1d8e, v91 :: v_dual_add_f32 v92, v98, v92
	v_dual_fmamk_f32 v98, v70, 0x3f65296c, v158 :: v_dual_mul_f32 v205, 0x3f65296c, v133
	v_mul_f32_e32 v206, 0x3ee437d1, v83
	v_mul_f32_e32 v186, 0x3f6eb680, v91
	;; [unrolled: 1-line block ×3, first 2 shown]
	s_delay_alu instid0(VALU_DEP_4) | instskip(SKIP_3) | instid1(VALU_DEP_4)
	v_dual_add_f32 v93, v98, v93 :: v_dual_fmamk_f32 v98, v76, 0x3dbcf732, v159
	v_dual_mul_f32 v183, 0x3f2c7751, v137 :: v_dual_mul_f32 v218, 0x3f2c7751, v151
	v_mul_f32_e32 v187, 0xbf7ee86f, v133
	v_mul_f32_e32 v222, 0xbe3c28d5, v137
	v_add_f32_e32 v92, v98, v92
	v_fmamk_f32 v98, v72, 0x3f7ee86f, v160
	v_mul_f32_e32 v188, 0x3dbcf732, v83
	v_mul_f32_e32 v226, 0xbeb8f4ab, v133
	v_mul_f32_e32 v219, 0x3f3d2fb0, v149
	v_mul_f32_e32 v217, 0xbf59a7d5, v150
	v_dual_add_f32 v93, v98, v93 :: v_dual_fmamk_f32 v98, v73, 0xbe8c1d8e, v161
	v_mul_f32_e32 v238, 0xbe3c28d5, v133
	v_mul_f32_e32 v223, 0xbf7ba420, v136
	;; [unrolled: 1-line block ×4, first 2 shown]
	v_add_f32_e32 v92, v98, v92
	v_fmamk_f32 v98, v74, 0x3f763a35, v162
	v_mul_f32_e32 v227, 0x3f6eb680, v83
	v_mul_f32_e32 v231, 0x3f6eb680, v149
	;; [unrolled: 1-line block ×4, first 2 shown]
	v_dual_add_f32 v93, v98, v93 :: v_dual_fmamk_f32 v98, v87, 0xbf1a4643, v163
	v_mul_f32_e32 v239, 0xbf7ba420, v83
	v_fmac_f32_e32 v158, 0xbf65296c, v70
	v_fmac_f32_e32 v156, 0xbf2c7751, v75
	;; [unrolled: 1-line block ×3, first 2 shown]
	v_add_f32_e32 v92, v98, v92
	v_fmamk_f32 v98, v80, 0x3f4c4adb, v164
	s_delay_alu instid0(VALU_DEP_4) | instskip(NEXT) | instid1(VALU_DEP_2)
	v_dual_fmac_f32 v162, 0xbf763a35, v74 :: v_dual_add_f32 v67, v156, v67
	v_dual_fmac_f32 v164, 0xbf4c4adb, v80 :: v_dual_add_f32 v93, v98, v93
	s_delay_alu instid0(VALU_DEP_2) | instskip(NEXT) | instid1(VALU_DEP_1)
	v_dual_fmamk_f32 v98, v81, 0xbf59a7d5, v165 :: v_dual_add_f32 v67, v158, v67
	v_add_f32_e32 v92, v98, v92
	s_delay_alu instid0(VALU_DEP_2) | instskip(NEXT) | instid1(VALU_DEP_1)
	v_dual_fmamk_f32 v98, v82, 0x3f06c442, v166 :: v_dual_add_f32 v67, v160, v67
	v_dual_fmac_f32 v166, 0xbf06c442, v82 :: v_dual_add_f32 v93, v98, v93
	s_delay_alu instid0(VALU_DEP_2) | instskip(NEXT) | instid1(VALU_DEP_1)
	v_dual_fmamk_f32 v98, v64, 0xbf7ba420, v167 :: v_dual_add_f32 v67, v162, v67
	v_add_f32_e32 v210, v98, v92
	v_fmamk_f32 v92, v65, 0x3e3c28d5, v170
	v_fmamk_f32 v98, v68, 0xbf1a4643, v194
	v_mul_f32_e32 v207, 0x3eb8f4ab, v201
	v_mul_f32_e32 v189, 0xbf06c442, v201
	v_mul_f32_e32 v216, 0x3f2c7751, v201
	v_dual_add_f32 v211, v92, v93 :: v_dual_fmamk_f32 v92, v69, 0x3dbcf732, v191
	v_fmamk_f32 v93, v75, 0x3f7ee86f, v192
	v_mul_f32_e32 v228, 0xbf4c4adb, v201
	v_mul_f32_e32 v240, 0x3f65296c, v201
	s_delay_alu instid0(VALU_DEP_4) | instskip(NEXT) | instid1(VALU_DEP_4)
	v_dual_mul_f32 v253, 0xbf763a35, v201 :: v_dual_add_f32 v92, v92, v178
	v_dual_add_f32 v93, v93, v179 :: v_dual_mul_f32 v178, 0xbf1a4643, v150
	v_mul_f32_e32 v179, 0x3e3c28d5, v151
	v_fmac_f32_e32 v170, 0xbe3c28d5, v65
	s_delay_alu instid0(VALU_DEP_4) | instskip(SKIP_4) | instid1(VALU_DEP_4)
	v_add_f32_e32 v92, v98, v92
	v_fmamk_f32 v98, v70, 0x3f4c4adb, v195
	v_fmac_f32_e32 v192, 0xbf7ee86f, v75
	v_fmac_f32_e32 v195, 0xbf4c4adb, v70
	v_add_f32_e32 v67, v164, v67
	v_dual_add_f32 v93, v98, v93 :: v_dual_fmamk_f32 v98, v76, 0xbf7ba420, v197
	s_delay_alu instid0(VALU_DEP_2) | instskip(NEXT) | instid1(VALU_DEP_2)
	v_add_f32_e32 v67, v166, v67
	v_add_f32_e32 v92, v98, v92
	v_fmamk_f32 v98, v72, 0x3e3c28d5, v198
	s_delay_alu instid0(VALU_DEP_1) | instskip(SKIP_1) | instid1(VALU_DEP_1)
	v_dual_fmac_f32 v198, 0xbe3c28d5, v72 :: v_dual_add_f32 v93, v98, v93
	v_fmamk_f32 v98, v73, 0xbf59a7d5, v199
	v_add_f32_e32 v92, v98, v92
	v_fmamk_f32 v98, v74, 0xbf06c442, v200
	s_delay_alu instid0(VALU_DEP_1) | instskip(SKIP_1) | instid1(VALU_DEP_2)
	v_dual_add_f32 v93, v98, v93 :: v_dual_fmamk_f32 v98, v87, 0xbe8c1d8e, v202
	v_fmac_f32_e32 v200, 0x3f06c442, v74
	v_add_f32_e32 v92, v98, v92
	v_fmamk_f32 v98, v80, 0xbf763a35, v203
	s_delay_alu instid0(VALU_DEP_1) | instskip(NEXT) | instid1(VALU_DEP_1)
	v_dual_add_f32 v93, v98, v93 :: v_dual_fmamk_f32 v98, v81, 0x3ee437d1, v205
	v_add_f32_e32 v92, v98, v92
	v_fmamk_f32 v98, v82, 0xbf65296c, v206
	s_delay_alu instid0(VALU_DEP_1) | instskip(SKIP_1) | instid1(VALU_DEP_1)
	v_dual_fmac_f32 v206, 0x3f65296c, v82 :: v_dual_add_f32 v93, v98, v93
	v_fmamk_f32 v98, v64, 0x3f6eb680, v207
	v_add_f32_e32 v212, v98, v92
	v_mul_f32_e32 v92, 0x3f6eb680, v204
	s_delay_alu instid0(VALU_DEP_1) | instskip(NEXT) | instid1(VALU_DEP_1)
	v_fmamk_f32 v98, v65, 0xbeb8f4ab, v92
	v_add_f32_e32 v213, v98, v93
	v_fmamk_f32 v93, v69, 0xbf1a4643, v177
	v_fmamk_f32 v98, v68, 0xbf7ba420, v179
	s_delay_alu instid0(VALU_DEP_2) | instskip(SKIP_1) | instid1(VALU_DEP_2)
	v_dual_fmac_f32 v92, 0x3eb8f4ab, v65 :: v_dual_add_f32 v93, v93, v95
	v_fmamk_f32 v95, v75, 0x3f4c4adb, v178
	v_dual_fmac_f32 v178, 0xbf4c4adb, v75 :: v_dual_add_f32 v93, v98, v93
	s_delay_alu instid0(VALU_DEP_2) | instskip(NEXT) | instid1(VALU_DEP_2)
	v_dual_add_f32 v95, v95, v180 :: v_dual_mul_f32 v180, 0xbf7ba420, v149
	v_add_f32_e32 v71, v178, v71
	s_delay_alu instid0(VALU_DEP_2) | instskip(NEXT) | instid1(VALU_DEP_1)
	v_fmamk_f32 v98, v70, 0xbe3c28d5, v180
	v_dual_add_f32 v95, v98, v95 :: v_dual_fmamk_f32 v98, v76, 0xbe8c1d8e, v181
	s_delay_alu instid0(VALU_DEP_1) | instskip(SKIP_1) | instid1(VALU_DEP_2)
	v_dual_fmac_f32 v180, 0x3e3c28d5, v70 :: v_dual_add_f32 v93, v98, v93
	v_fmamk_f32 v98, v72, 0xbf763a35, v182
	v_dual_fmac_f32 v182, 0x3f763a35, v72 :: v_dual_add_f32 v71, v180, v71
	s_delay_alu instid0(VALU_DEP_2) | instskip(NEXT) | instid1(VALU_DEP_2)
	v_dual_add_f32 v95, v98, v95 :: v_dual_fmamk_f32 v98, v73, 0x3f3d2fb0, v183
	v_add_f32_e32 v71, v182, v71
	s_delay_alu instid0(VALU_DEP_2) | instskip(SKIP_1) | instid1(VALU_DEP_1)
	v_add_f32_e32 v93, v98, v93
	v_fmamk_f32 v98, v74, 0xbf2c7751, v184
	v_dual_add_f32 v95, v98, v95 :: v_dual_fmamk_f32 v98, v87, 0x3f6eb680, v185
	s_delay_alu instid0(VALU_DEP_1) | instskip(SKIP_1) | instid1(VALU_DEP_2)
	v_dual_fmac_f32 v184, 0x3f2c7751, v74 :: v_dual_add_f32 v93, v98, v93
	v_fmamk_f32 v98, v80, 0x3eb8f4ab, v186
	v_add_f32_e32 v71, v184, v71
	s_delay_alu instid0(VALU_DEP_2) | instskip(NEXT) | instid1(VALU_DEP_1)
	v_dual_add_f32 v95, v98, v95 :: v_dual_fmamk_f32 v98, v81, 0x3dbcf732, v187
	v_add_f32_e32 v93, v98, v93
	v_fmamk_f32 v98, v82, 0x3f7ee86f, v188
	s_delay_alu instid0(VALU_DEP_1) | instskip(NEXT) | instid1(VALU_DEP_1)
	v_dual_fmac_f32 v186, 0xbeb8f4ab, v80 :: v_dual_add_f32 v95, v98, v95
	v_dual_fmamk_f32 v98, v64, 0xbf59a7d5, v189 :: v_dual_add_f32 v71, v186, v71
	s_delay_alu instid0(VALU_DEP_1) | instskip(NEXT) | instid1(VALU_DEP_1)
	v_dual_add_f32 v214, v98, v93 :: v_dual_fmamk_f32 v93, v65, 0x3f06c442, v190
	v_dual_fmac_f32 v190, 0xbf06c442, v65 :: v_dual_add_f32 v215, v93, v95
	v_mul_f32_e32 v93, 0xbe3c28d5, v152
	ds_store_2addr_b64 v84, v[208:209], v[210:211] offset1:1
	ds_store_2addr_b64 v84, v[212:213], v[214:215] offset0:2 offset1:3
	v_mul_f32_e32 v214, 0x3f4c4adb, v133
	v_fmamk_f32 v95, v69, 0xbf7ba420, v93
	s_delay_alu instid0(VALU_DEP_1) | instskip(SKIP_1) | instid1(VALU_DEP_1)
	v_dual_mul_f32 v215, 0xbf1a4643, v83 :: v_dual_add_f32 v94, v95, v94
	v_mul_f32_e32 v95, 0xbf7ba420, v150
	v_fmamk_f32 v98, v75, 0x3e3c28d5, v95
	s_delay_alu instid0(VALU_DEP_1) | instskip(SKIP_1) | instid1(VALU_DEP_2)
	v_dual_add_f32 v97, v98, v97 :: v_dual_mul_f32 v98, 0x3f763a35, v151
	v_fmac_f32_e32 v188, 0xbf7ee86f, v82
	v_fmamk_f32 v104, v68, 0xbe8c1d8e, v98
	s_delay_alu instid0(VALU_DEP_2) | instskip(NEXT) | instid1(VALU_DEP_2)
	v_add_f32_e32 v71, v188, v71
	v_add_f32_e32 v94, v104, v94
	v_mul_f32_e32 v104, 0xbe8c1d8e, v149
	s_delay_alu instid0(VALU_DEP_1) | instskip(NEXT) | instid1(VALU_DEP_1)
	v_fmamk_f32 v140, v70, 0xbf763a35, v104
	v_dual_add_f32 v97, v140, v97 :: v_dual_mul_f32 v140, 0x3eb8f4ab, v148
	s_delay_alu instid0(VALU_DEP_1) | instskip(NEXT) | instid1(VALU_DEP_1)
	v_fmamk_f32 v141, v76, 0x3f6eb680, v140
	v_add_f32_e32 v94, v141, v94
	v_mul_f32_e32 v141, 0x3f6eb680, v138
	s_delay_alu instid0(VALU_DEP_1) | instskip(NEXT) | instid1(VALU_DEP_1)
	v_fmamk_f32 v142, v72, 0xbeb8f4ab, v141
	v_add_f32_e32 v97, v142, v97
	v_mul_f32_e32 v142, 0xbf65296c, v137
	s_delay_alu instid0(VALU_DEP_1) | instskip(NEXT) | instid1(VALU_DEP_1)
	v_fmamk_f32 v143, v73, 0x3ee437d1, v142
	v_dual_add_f32 v94, v143, v94 :: v_dual_mul_f32 v143, 0x3ee437d1, v136
	s_delay_alu instid0(VALU_DEP_1) | instskip(NEXT) | instid1(VALU_DEP_1)
	v_fmamk_f32 v144, v74, 0x3f65296c, v143
	v_dual_add_f32 v97, v144, v97 :: v_dual_mul_f32 v144, 0xbf06c442, v90
	;; [unrolled: 3-line block ×3, first 2 shown]
	s_delay_alu instid0(VALU_DEP_1) | instskip(NEXT) | instid1(VALU_DEP_1)
	v_fmamk_f32 v208, v80, 0x3f06c442, v145
	v_dual_add_f32 v97, v208, v97 :: v_dual_fmamk_f32 v208, v81, 0xbf1a4643, v214
	s_delay_alu instid0(VALU_DEP_1) | instskip(SKIP_2) | instid1(VALU_DEP_2)
	v_add_f32_e32 v94, v208, v94
	v_fmamk_f32 v208, v82, 0xbf4c4adb, v215
	v_fmac_f32_e32 v215, 0x3f4c4adb, v82
	v_add_f32_e32 v97, v208, v97
	v_fmamk_f32 v208, v64, 0x3f3d2fb0, v216
	s_delay_alu instid0(VALU_DEP_1) | instskip(SKIP_1) | instid1(VALU_DEP_1)
	v_add_f32_e32 v208, v208, v94
	v_mul_f32_e32 v94, 0x3f3d2fb0, v204
	v_fmamk_f32 v209, v65, 0xbf2c7751, v94
	v_fmac_f32_e32 v94, 0x3f2c7751, v65
	s_delay_alu instid0(VALU_DEP_2) | instskip(SKIP_1) | instid1(VALU_DEP_1)
	v_add_f32_e32 v209, v209, v97
	v_mul_f32_e32 v97, 0x3f06c442, v152
	v_fmamk_f32 v210, v69, 0xbf59a7d5, v97
	s_delay_alu instid0(VALU_DEP_1) | instskip(SKIP_1) | instid1(VALU_DEP_1)
	v_add_f32_e32 v96, v210, v96
	v_fmamk_f32 v210, v75, 0xbf06c442, v217
	v_dual_add_f32 v99, v210, v99 :: v_dual_fmamk_f32 v210, v68, 0x3f3d2fb0, v218
	v_dual_fmac_f32 v203, 0x3f763a35, v80 :: v_dual_fmac_f32 v104, 0x3f763a35, v70
	s_delay_alu instid0(VALU_DEP_2) | instskip(SKIP_2) | instid1(VALU_DEP_2)
	v_add_f32_e32 v96, v210, v96
	v_fmamk_f32 v210, v70, 0xbf2c7751, v219
	v_fmac_f32_e32 v219, 0x3f2c7751, v70
	v_dual_add_f32 v99, v210, v99 :: v_dual_fmamk_f32 v210, v76, 0x3ee437d1, v220
	s_delay_alu instid0(VALU_DEP_1) | instskip(SKIP_1) | instid1(VALU_DEP_1)
	v_dual_fmac_f32 v143, 0xbf65296c, v74 :: v_dual_add_f32 v96, v210, v96
	v_fmamk_f32 v210, v72, 0x3f65296c, v221
	v_dual_add_f32 v99, v210, v99 :: v_dual_fmamk_f32 v210, v73, 0xbf7ba420, v222
	s_delay_alu instid0(VALU_DEP_1) | instskip(SKIP_1) | instid1(VALU_DEP_1)
	v_dual_fmac_f32 v95, 0xbe3c28d5, v75 :: v_dual_add_f32 v96, v210, v96
	v_fmamk_f32 v210, v74, 0x3e3c28d5, v223
	v_dual_add_f32 v88, v95, v88 :: v_dual_add_f32 v99, v210, v99
	v_mul_f32_e32 v224, 0x3f7ee86f, v90
	s_delay_alu instid0(VALU_DEP_2) | instskip(NEXT) | instid1(VALU_DEP_2)
	v_add_f32_e32 v88, v104, v88
	v_fmamk_f32 v210, v87, 0x3dbcf732, v224
	s_delay_alu instid0(VALU_DEP_1) | instskip(SKIP_2) | instid1(VALU_DEP_2)
	v_add_f32_e32 v96, v210, v96
	v_fmamk_f32 v210, v80, 0xbf7ee86f, v225
	v_fmac_f32_e32 v225, 0x3f7ee86f, v80
	v_dual_add_f32 v99, v210, v99 :: v_dual_fmamk_f32 v210, v81, 0x3f6eb680, v226
	s_delay_alu instid0(VALU_DEP_1) | instskip(SKIP_1) | instid1(VALU_DEP_1)
	v_add_f32_e32 v96, v210, v96
	v_fmamk_f32 v210, v82, 0x3eb8f4ab, v227
	v_dual_add_f32 v99, v210, v99 :: v_dual_fmamk_f32 v210, v64, 0xbf1a4643, v228
	s_delay_alu instid0(VALU_DEP_1) | instskip(SKIP_2) | instid1(VALU_DEP_2)
	v_add_f32_e32 v210, v210, v96
	v_mul_f32_e32 v96, 0xbf1a4643, v204
	v_fmac_f32_e32 v145, 0xbf06c442, v80
	v_fmamk_f32 v211, v65, 0x3f4c4adb, v96
	s_delay_alu instid0(VALU_DEP_1) | instskip(SKIP_1) | instid1(VALU_DEP_1)
	v_add_f32_e32 v211, v211, v99
	v_mul_f32_e32 v99, 0x3f763a35, v152
	v_fmamk_f32 v212, v69, 0xbe8c1d8e, v99
	s_delay_alu instid0(VALU_DEP_1) | instskip(SKIP_4) | instid1(VALU_DEP_4)
	v_add_f32_e32 v196, v212, v196
	v_fmamk_f32 v212, v75, 0xbf763a35, v229
	v_fmac_f32_e32 v229, 0x3f763a35, v75
	v_mul_f32_e32 v236, 0xbf2c7751, v90
	v_fmac_f32_e32 v217, 0x3f06c442, v75
	v_add_f32_e32 v193, v212, v193
	s_delay_alu instid0(VALU_DEP_4) | instskip(NEXT) | instid1(VALU_DEP_3)
	v_dual_fmamk_f32 v212, v68, 0x3f6eb680, v230 :: v_dual_add_f32 v173, v229, v173
	v_add_f32_e32 v78, v217, v78
	s_delay_alu instid0(VALU_DEP_2) | instskip(SKIP_1) | instid1(VALU_DEP_3)
	v_dual_fmac_f32 v227, 0xbeb8f4ab, v82 :: v_dual_add_f32 v196, v212, v196
	v_fmamk_f32 v212, v70, 0x3eb8f4ab, v231
	v_dual_add_f32 v78, v219, v78 :: v_dual_fmac_f32 v221, 0xbf65296c, v72
	s_delay_alu instid0(VALU_DEP_2) | instskip(SKIP_1) | instid1(VALU_DEP_3)
	v_add_f32_e32 v193, v212, v193
	v_fmamk_f32 v212, v76, 0xbf59a7d5, v232
	v_add_f32_e32 v78, v221, v78
	s_delay_alu instid0(VALU_DEP_2) | instskip(SKIP_1) | instid1(VALU_DEP_1)
	v_add_f32_e32 v196, v212, v196
	v_fmamk_f32 v212, v72, 0x3f06c442, v233
	v_dual_add_f32 v193, v212, v193 :: v_dual_fmamk_f32 v212, v73, 0x3dbcf732, v234
	s_delay_alu instid0(VALU_DEP_1) | instskip(SKIP_3) | instid1(VALU_DEP_3)
	v_add_f32_e32 v196, v212, v196
	v_fmamk_f32 v212, v74, 0xbf7ee86f, v235
	v_fmac_f32_e32 v231, 0xbeb8f4ab, v70
	v_fmac_f32_e32 v235, 0x3f7ee86f, v74
	v_dual_add_f32 v193, v212, v193 :: v_dual_fmamk_f32 v212, v87, 0x3f3d2fb0, v236
	s_delay_alu instid0(VALU_DEP_3) | instskip(SKIP_1) | instid1(VALU_DEP_3)
	v_add_f32_e32 v173, v231, v173
	v_fmac_f32_e32 v96, 0xbf4c4adb, v65
	v_add_f32_e32 v196, v212, v196
	v_fmamk_f32 v212, v80, 0x3f2c7751, v237
	v_fmac_f32_e32 v233, 0xbf06c442, v72
	v_fmac_f32_e32 v237, 0xbf2c7751, v80
	s_delay_alu instid0(VALU_DEP_3) | instskip(NEXT) | instid1(VALU_DEP_3)
	v_dual_add_f32 v193, v212, v193 :: v_dual_fmamk_f32 v212, v81, 0xbf7ba420, v238
	v_add_f32_e32 v173, v233, v173
	v_fmac_f32_e32 v223, 0xbe3c28d5, v74
	v_fmac_f32_e32 v141, 0x3eb8f4ab, v72
	s_delay_alu instid0(VALU_DEP_4) | instskip(NEXT) | instid1(VALU_DEP_4)
	v_add_f32_e32 v196, v212, v196
	v_dual_fmamk_f32 v212, v82, 0x3e3c28d5, v239 :: v_dual_add_f32 v173, v235, v173
	s_delay_alu instid0(VALU_DEP_3) | instskip(NEXT) | instid1(VALU_DEP_2)
	v_dual_fmac_f32 v239, 0xbe3c28d5, v82 :: v_dual_add_f32 v88, v141, v88
	v_dual_add_f32 v78, v223, v78 :: v_dual_add_f32 v193, v212, v193
	s_delay_alu instid0(VALU_DEP_3) | instskip(NEXT) | instid1(VALU_DEP_3)
	v_dual_fmamk_f32 v212, v64, 0x3ee437d1, v240 :: v_dual_add_f32 v173, v237, v173
	v_add_f32_e32 v88, v143, v88
	s_delay_alu instid0(VALU_DEP_3) | instskip(NEXT) | instid1(VALU_DEP_3)
	v_add_f32_e32 v78, v225, v78
	v_add_f32_e32 v212, v212, v196
	v_mul_f32_e32 v196, 0x3ee437d1, v204
	s_delay_alu instid0(VALU_DEP_4) | instskip(NEXT) | instid1(VALU_DEP_2)
	v_add_f32_e32 v88, v145, v88
	v_fmamk_f32 v213, v65, 0xbf65296c, v196
	s_delay_alu instid0(VALU_DEP_1) | instskip(SKIP_1) | instid1(VALU_DEP_1)
	v_add_f32_e32 v213, v213, v193
	v_mul_f32_e32 v193, 0x3f65296c, v152
	v_fmamk_f32 v241, v69, 0x3ee437d1, v193
	s_delay_alu instid0(VALU_DEP_1) | instskip(SKIP_2) | instid1(VALU_DEP_3)
	v_dual_add_f32 v176, v241, v176 :: v_dual_mul_f32 v241, 0x3ee437d1, v150
	v_fmac_f32_e32 v196, 0x3f65296c, v65
	v_mul_f32_e32 v150, 0x3f6eb680, v150
	v_fmamk_f32 v242, v75, 0xbf65296c, v241
	v_fmac_f32_e32 v241, 0x3f65296c, v75
	s_delay_alu instid0(VALU_DEP_2) | instskip(SKIP_2) | instid1(VALU_DEP_2)
	v_add_f32_e32 v175, v242, v175
	v_mul_f32_e32 v242, 0xbf7ee86f, v151
	v_mul_f32_e32 v151, 0xbf06c442, v151
	v_fmamk_f32 v243, v68, 0x3dbcf732, v242
	s_delay_alu instid0(VALU_DEP_1) | instskip(SKIP_1) | instid1(VALU_DEP_2)
	v_dual_add_f32 v176, v243, v176 :: v_dual_mul_f32 v243, 0x3dbcf732, v149
	v_mul_f32_e32 v149, 0xbf59a7d5, v149
	v_fmamk_f32 v244, v70, 0x3f7ee86f, v243
	v_fmac_f32_e32 v243, 0xbf7ee86f, v70
	s_delay_alu instid0(VALU_DEP_2) | instskip(NEXT) | instid1(VALU_DEP_1)
	v_dual_add_f32 v175, v244, v175 :: v_dual_mul_f32 v244, 0x3f4c4adb, v148
	v_fmamk_f32 v245, v76, 0xbf1a4643, v244
	s_delay_alu instid0(VALU_DEP_1) | instskip(SKIP_1) | instid1(VALU_DEP_2)
	v_dual_add_f32 v176, v245, v176 :: v_dual_mul_f32 v245, 0xbf1a4643, v138
	v_mul_f32_e32 v138, 0x3f3d2fb0, v138
	v_fmamk_f32 v246, v72, 0xbf4c4adb, v245
	v_fmac_f32_e32 v245, 0x3f4c4adb, v72
	s_delay_alu instid0(VALU_DEP_2) | instskip(SKIP_1) | instid1(VALU_DEP_2)
	v_dual_add_f32 v175, v246, v175 :: v_dual_mul_f32 v246, 0xbeb8f4ab, v137
	v_mul_f32_e32 v137, 0xbf4c4adb, v137
	v_fmamk_f32 v247, v73, 0x3f6eb680, v246
	s_delay_alu instid0(VALU_DEP_1) | instskip(SKIP_2) | instid1(VALU_DEP_2)
	v_add_f32_e32 v176, v247, v176
	v_mul_f32_e32 v247, 0x3f6eb680, v136
	v_mul_f32_e32 v136, 0xbf1a4643, v136
	v_fmamk_f32 v248, v74, 0x3eb8f4ab, v247
	s_delay_alu instid0(VALU_DEP_1) | instskip(NEXT) | instid1(VALU_DEP_1)
	v_dual_add_f32 v175, v248, v175 :: v_dual_mul_f32 v248, 0xbe3c28d5, v90
	v_fmamk_f32 v249, v87, 0xbf7ba420, v248
	s_delay_alu instid0(VALU_DEP_1) | instskip(NEXT) | instid1(VALU_DEP_1)
	v_dual_add_f32 v176, v249, v176 :: v_dual_mul_f32 v249, 0xbf7ba420, v91
	v_fmamk_f32 v250, v80, 0x3e3c28d5, v249
	v_fmac_f32_e32 v249, 0xbe3c28d5, v80
	s_delay_alu instid0(VALU_DEP_2) | instskip(SKIP_1) | instid1(VALU_DEP_2)
	v_dual_add_f32 v175, v250, v175 :: v_dual_mul_f32 v250, 0x3f2c7751, v133
	v_mul_f32_e32 v133, 0xbf763a35, v133
	v_fmamk_f32 v251, v81, 0x3f3d2fb0, v250
	s_delay_alu instid0(VALU_DEP_1) | instskip(SKIP_1) | instid1(VALU_DEP_2)
	v_dual_add_f32 v176, v251, v176 :: v_dual_mul_f32 v251, 0x3f3d2fb0, v83
	v_mul_f32_e32 v83, 0xbe8c1d8e, v83
	v_fmamk_f32 v252, v82, 0xbf2c7751, v251
	s_delay_alu instid0(VALU_DEP_1) | instskip(SKIP_2) | instid1(VALU_DEP_2)
	v_add_f32_e32 v252, v252, v175
	v_fma_f32 v99, 0xbe8c1d8e, v69, -v99
	v_fmamk_f32 v175, v64, 0xbe8c1d8e, v253
	v_add_f32_e32 v99, v99, v174
	v_fma_f32 v174, 0x3f6eb680, v68, -v230
	s_delay_alu instid0(VALU_DEP_3) | instskip(NEXT) | instid1(VALU_DEP_2)
	v_add_f32_e32 v175, v175, v176
	v_add_f32_e32 v99, v174, v99
	v_fma_f32 v174, 0xbf59a7d5, v76, -v232
	s_delay_alu instid0(VALU_DEP_1) | instskip(SKIP_1) | instid1(VALU_DEP_1)
	v_add_f32_e32 v99, v174, v99
	v_fma_f32 v174, 0x3dbcf732, v73, -v234
	v_add_f32_e32 v99, v174, v99
	v_fma_f32 v174, 0x3f3d2fb0, v87, -v236
	s_delay_alu instid0(VALU_DEP_1) | instskip(SKIP_1) | instid1(VALU_DEP_1)
	v_add_f32_e32 v99, v174, v99
	v_fma_f32 v174, 0xbf7ba420, v81, -v238
	v_dual_add_f32 v99, v174, v99 :: v_dual_add_f32 v174, v239, v173
	v_fma_f32 v173, 0x3ee437d1, v64, -v240
	v_fmac_f32_e32 v247, 0xbeb8f4ab, v74
	s_delay_alu instid0(VALU_DEP_2) | instskip(SKIP_1) | instid1(VALU_DEP_1)
	v_add_f32_e32 v173, v173, v99
	v_mul_f32_e32 v99, 0x3eb8f4ab, v152
	v_fmamk_f32 v152, v69, 0x3f6eb680, v99
	s_delay_alu instid0(VALU_DEP_1) | instskip(SKIP_1) | instid1(VALU_DEP_1)
	v_add_f32_e32 v152, v152, v172
	v_fmamk_f32 v172, v75, 0xbeb8f4ab, v150
	v_add_f32_e32 v171, v172, v171
	v_fmamk_f32 v172, v68, 0xbf59a7d5, v151
	s_delay_alu instid0(VALU_DEP_1) | instskip(SKIP_2) | instid1(VALU_DEP_2)
	v_add_f32_e32 v152, v172, v152
	v_fmamk_f32 v172, v70, 0x3f06c442, v149
	v_fmac_f32_e32 v149, 0xbf06c442, v70
	v_dual_mul_f32 v148, 0x3f2c7751, v148 :: v_dual_add_f32 v171, v172, v171
	s_delay_alu instid0(VALU_DEP_1) | instskip(NEXT) | instid1(VALU_DEP_1)
	v_fmamk_f32 v172, v76, 0x3f3d2fb0, v148
	v_add_f32_e32 v152, v172, v152
	v_fmamk_f32 v172, v72, 0xbf2c7751, v138
	s_delay_alu instid0(VALU_DEP_1) | instskip(NEXT) | instid1(VALU_DEP_1)
	v_dual_add_f32 v171, v172, v171 :: v_dual_fmamk_f32 v172, v73, 0xbf1a4643, v137
	v_add_f32_e32 v152, v172, v152
	v_fmamk_f32 v172, v74, 0x3f4c4adb, v136
	v_fmamk_f32 v176, v65, 0x3f763a35, v254
	s_delay_alu instid0(VALU_DEP_2) | instskip(SKIP_1) | instid1(VALU_DEP_3)
	v_dual_fmac_f32 v254, 0xbf763a35, v65 :: v_dual_add_f32 v171, v172, v171
	v_mul_f32_e32 v172, 0x3f65296c, v90
	v_add_f32_e32 v176, v176, v252
	ds_store_2addr_b64 v84, v[208:209], v[210:211] offset0:4 offset1:5
	ds_store_2addr_b64 v84, v[212:213], v[175:176] offset0:6 offset1:7
	v_fmamk_f32 v90, v87, 0x3ee437d1, v172
	s_delay_alu instid0(VALU_DEP_1) | instskip(SKIP_2) | instid1(VALU_DEP_2)
	v_add_f32_e32 v90, v90, v152
	v_mul_f32_e32 v152, 0x3ee437d1, v91
	v_fma_f32 v151, 0xbf59a7d5, v68, -v151
	v_fmamk_f32 v91, v80, 0xbf65296c, v152
	s_delay_alu instid0(VALU_DEP_1) | instskip(SKIP_1) | instid1(VALU_DEP_1)
	v_dual_fmac_f32 v152, 0x3f65296c, v80 :: v_dual_add_f32 v91, v91, v171
	v_fmamk_f32 v171, v81, 0xbe8c1d8e, v133
	v_dual_add_f32 v90, v171, v90 :: v_dual_fmamk_f32 v171, v82, 0x3f763a35, v83
	v_fmac_f32_e32 v83, 0xbf763a35, v82
	s_delay_alu instid0(VALU_DEP_2) | instskip(SKIP_3) | instid1(VALU_DEP_3)
	v_add_f32_e32 v91, v171, v91
	v_mul_f32_e32 v171, 0x3f7ee86f, v201
	v_dual_mul_f32 v175, 0x3dbcf732, v204 :: v_dual_add_f32 v174, v196, v174
	v_fmac_f32_e32 v251, 0x3f2c7751, v82
	v_fmamk_f32 v176, v64, 0x3dbcf732, v171
	s_delay_alu instid0(VALU_DEP_1) | instskip(SKIP_1) | instid1(VALU_DEP_1)
	v_add_f32_e32 v90, v176, v90
	v_fma_f32 v99, 0x3f6eb680, v69, -v99
	v_dual_add_f32 v99, v99, v169 :: v_dual_fmac_f32 v150, 0x3eb8f4ab, v75
	s_delay_alu instid0(VALU_DEP_1) | instskip(SKIP_1) | instid1(VALU_DEP_2)
	v_dual_add_f32 v99, v151, v99 :: v_dual_add_f32 v150, v150, v168
	v_fma_f32 v137, 0xbf1a4643, v73, -v137
	v_add_f32_e32 v149, v149, v150
	v_fma_f32 v148, 0x3f3d2fb0, v76, -v148
	s_delay_alu instid0(VALU_DEP_1) | instskip(NEXT) | instid1(VALU_DEP_1)
	v_dual_add_f32 v99, v148, v99 :: v_dual_fmac_f32 v138, 0x3f2c7751, v72
	v_add_f32_e32 v99, v137, v99
	v_fma_f32 v137, 0x3ee437d1, v87, -v172
	s_delay_alu instid0(VALU_DEP_1) | instskip(SKIP_1) | instid1(VALU_DEP_1)
	v_dual_add_f32 v138, v138, v149 :: v_dual_add_f32 v99, v137, v99
	v_fmac_f32_e32 v136, 0xbf4c4adb, v74
	v_add_f32_e32 v136, v136, v138
	v_fma_f32 v133, 0xbe8c1d8e, v81, -v133
	s_delay_alu instid0(VALU_DEP_1) | instskip(SKIP_1) | instid1(VALU_DEP_1)
	v_dual_add_f32 v136, v152, v136 :: v_dual_add_f32 v99, v133, v99
	v_fma_f32 v133, 0x3dbcf732, v64, -v171
	v_dual_add_f32 v83, v83, v136 :: v_dual_add_f32 v136, v133, v99
	v_add_f32_e32 v99, v241, v153
	v_fmamk_f32 v176, v65, 0xbf7ee86f, v175
	v_fmac_f32_e32 v175, 0x3f7ee86f, v65
	v_fma_f32 v133, 0x3dbcf732, v68, -v242
	s_delay_alu instid0(VALU_DEP_4) | instskip(NEXT) | instid1(VALU_DEP_4)
	v_add_f32_e32 v99, v243, v99
	v_add_f32_e32 v91, v176, v91
	s_delay_alu instid0(VALU_DEP_4) | instskip(SKIP_1) | instid1(VALU_DEP_4)
	v_add_f32_e32 v137, v175, v83
	v_fma_f32 v83, 0x3ee437d1, v69, -v193
	v_add_f32_e32 v99, v245, v99
	s_delay_alu instid0(VALU_DEP_2) | instskip(NEXT) | instid1(VALU_DEP_2)
	v_add_f32_e32 v83, v83, v154
	v_add_f32_e32 v99, v247, v99
	s_delay_alu instid0(VALU_DEP_2) | instskip(SKIP_1) | instid1(VALU_DEP_3)
	v_add_f32_e32 v83, v133, v83
	v_fma_f32 v133, 0xbf1a4643, v76, -v244
	v_add_f32_e32 v99, v249, v99
	s_delay_alu instid0(VALU_DEP_2) | instskip(SKIP_1) | instid1(VALU_DEP_3)
	v_add_f32_e32 v83, v133, v83
	v_fma_f32 v133, 0x3f6eb680, v73, -v246
	;; [unrolled: 4-line block ×3, first 2 shown]
	v_add_f32_e32 v149, v254, v99
	s_delay_alu instid0(VALU_DEP_2) | instskip(SKIP_1) | instid1(VALU_DEP_1)
	v_add_f32_e32 v83, v133, v83
	v_fma_f32 v133, 0x3f3d2fb0, v81, -v250
	v_add_f32_e32 v83, v133, v83
	v_fma_f32 v133, 0xbe8c1d8e, v64, -v253
	s_delay_alu instid0(VALU_DEP_1)
	v_add_f32_e32 v148, v133, v83
	v_fma_f32 v83, 0x3dbcf732, v69, -v191
	ds_store_2addr_b64 v84, v[90:91], v[136:137] offset0:8 offset1:9
	ds_store_2addr_b64 v84, v[148:149], v[173:174] offset0:10 offset1:11
	v_fma_f32 v91, 0xbf1a4643, v68, -v194
	v_dual_add_f32 v83, v83, v135 :: v_dual_add_f32 v90, v192, v134
	v_add_f32_e32 v136, v170, v67
	s_delay_alu instid0(VALU_DEP_2) | instskip(SKIP_1) | instid1(VALU_DEP_1)
	v_add_f32_e32 v83, v91, v83
	v_fma_f32 v91, 0xbf7ba420, v76, -v197
	v_add_f32_e32 v83, v91, v83
	v_fma_f32 v91, 0xbf59a7d5, v73, -v199
	s_delay_alu instid0(VALU_DEP_1) | instskip(SKIP_1) | instid1(VALU_DEP_1)
	v_add_f32_e32 v83, v91, v83
	v_fma_f32 v91, 0xbe8c1d8e, v87, -v202
	v_add_f32_e32 v83, v91, v83
	v_fma_f32 v91, 0x3ee437d1, v81, -v205
	s_delay_alu instid0(VALU_DEP_1) | instskip(SKIP_1) | instid1(VALU_DEP_1)
	v_add_f32_e32 v83, v91, v83
	v_fma_f32 v91, 0x3f6eb680, v64, -v207
	v_add_f32_e32 v133, v91, v83
	v_fma_f32 v83, 0xbf7ba420, v69, -v93
	v_add_f32_e32 v91, v190, v71
	s_delay_alu instid0(VALU_DEP_2) | instskip(SKIP_1) | instid1(VALU_DEP_1)
	v_add_f32_e32 v83, v83, v89
	v_fma_f32 v89, 0xbe8c1d8e, v68, -v98
	v_add_f32_e32 v83, v89, v83
	v_fma_f32 v89, 0x3f6eb680, v76, -v140
	s_delay_alu instid0(VALU_DEP_1) | instskip(SKIP_1) | instid1(VALU_DEP_1)
	v_add_f32_e32 v83, v89, v83
	v_fma_f32 v89, 0x3ee437d1, v73, -v142
	v_add_f32_e32 v83, v89, v83
	v_fma_f32 v89, 0xbf59a7d5, v87, -v144
	s_delay_alu instid0(VALU_DEP_1) | instskip(SKIP_1) | instid1(VALU_DEP_1)
	v_add_f32_e32 v83, v89, v83
	v_fma_f32 v89, 0xbf1a4643, v81, -v214
	v_add_f32_e32 v83, v89, v83
	v_add_f32_e32 v89, v215, v88
	v_fma_f32 v88, 0x3f3d2fb0, v64, -v216
	s_delay_alu instid0(VALU_DEP_1) | instskip(SKIP_2) | instid1(VALU_DEP_2)
	v_dual_add_f32 v89, v94, v89 :: v_dual_add_f32 v88, v88, v83
	v_fma_f32 v83, 0xbf59a7d5, v69, -v97
	v_add_f32_e32 v90, v195, v90
	v_add_f32_e32 v79, v83, v79
	v_fma_f32 v83, 0x3f3d2fb0, v68, -v218
	s_delay_alu instid0(VALU_DEP_1) | instskip(SKIP_1) | instid1(VALU_DEP_1)
	v_dual_add_f32 v90, v198, v90 :: v_dual_add_f32 v79, v83, v79
	v_fma_f32 v83, 0x3ee437d1, v76, -v220
	v_dual_add_f32 v90, v200, v90 :: v_dual_add_f32 v79, v83, v79
	v_fma_f32 v83, 0xbf7ba420, v73, -v222
	s_delay_alu instid0(VALU_DEP_2) | instskip(NEXT) | instid1(VALU_DEP_2)
	v_add_f32_e32 v90, v203, v90
	v_add_f32_e32 v79, v83, v79
	v_fma_f32 v83, 0x3dbcf732, v87, -v224
	s_delay_alu instid0(VALU_DEP_1) | instskip(SKIP_1) | instid1(VALU_DEP_1)
	v_dual_add_f32 v90, v206, v90 :: v_dual_add_f32 v79, v83, v79
	v_fma_f32 v83, 0x3f6eb680, v81, -v226
	v_dual_add_f32 v134, v92, v90 :: v_dual_add_f32 v79, v83, v79
	v_add_f32_e32 v83, v227, v78
	v_fma_f32 v78, 0xbf1a4643, v64, -v228
	s_delay_alu instid0(VALU_DEP_1) | instskip(NEXT) | instid1(VALU_DEP_3)
	v_add_f32_e32 v78, v78, v79
	v_add_f32_e32 v79, v96, v83
	v_fma_f32 v83, 0xbf1a4643, v69, -v177
	v_fma_f32 v69, 0x3f3d2fb0, v69, -v155
	ds_store_2addr_b64 v84, v[78:79], v[88:89] offset0:12 offset1:13
	v_add_f32_e32 v77, v83, v77
	v_fma_f32 v83, 0xbf7ba420, v68, -v179
	v_add_f32_e32 v66, v69, v66
	v_fma_f32 v68, 0x3ee437d1, v68, -v157
	s_delay_alu instid0(VALU_DEP_1) | instskip(SKIP_1) | instid1(VALU_DEP_1)
	v_add_f32_e32 v66, v68, v66
	v_fma_f32 v68, 0x3dbcf732, v76, -v159
	v_add_f32_e32 v66, v68, v66
	v_fma_f32 v68, 0xbe8c1d8e, v73, -v161
	s_delay_alu instid0(VALU_DEP_1) | instskip(SKIP_1) | instid1(VALU_DEP_1)
	v_add_f32_e32 v66, v68, v66
	v_fma_f32 v68, 0xbf1a4643, v87, -v163
	v_add_f32_e32 v66, v68, v66
	v_fma_f32 v68, 0xbf59a7d5, v81, -v165
	s_delay_alu instid0(VALU_DEP_1) | instskip(SKIP_2) | instid1(VALU_DEP_1)
	v_dual_add_f32 v66, v68, v66 :: v_dual_add_f32 v77, v83, v77
	v_add_nc_u32_e32 v68, 0x1400, v139
	v_fma_f32 v83, 0xbe8c1d8e, v76, -v181
	v_add_f32_e32 v77, v83, v77
	v_fma_f32 v83, 0x3f3d2fb0, v73, -v183
	s_delay_alu instid0(VALU_DEP_1) | instskip(SKIP_1) | instid1(VALU_DEP_1)
	v_add_f32_e32 v77, v83, v77
	v_fma_f32 v83, 0x3f6eb680, v87, -v185
	v_add_f32_e32 v77, v83, v77
	v_fma_f32 v83, 0x3dbcf732, v81, -v187
	s_delay_alu instid0(VALU_DEP_1) | instskip(SKIP_2) | instid1(VALU_DEP_1)
	v_add_f32_e32 v77, v83, v77
	v_fma_f32 v83, 0xbf59a7d5, v64, -v189
	v_fma_f32 v64, 0xbf7ba420, v64, -v167
	v_dual_add_f32 v90, v83, v77 :: v_dual_add_f32 v135, v64, v66
	v_add_nc_u32_e32 v64, 0x400, v139
	ds_store_2addr_b64 v84, v[90:91], v[133:134] offset0:14 offset1:15
	ds_store_b64 v84, v[135:136] offset:128
	global_wb scope:SCOPE_SE
	s_wait_dscnt 0x0
	s_barrier_signal -1
	s_barrier_wait -1
	global_inv scope:SCOPE_SE
	ds_load_b64 v[137:138], v139 offset:10608
	ds_load_2addr_b64 v[64:67], v64 offset0:42 offset1:161
	ds_load_2addr_b64 v[88:91], v85 offset0:66 offset1:151
	ds_load_2addr_b64 v[76:79], v68 offset0:108 offset1:227
	ds_load_2addr_b64 v[84:87], v86 offset0:132 offset1:217
	ds_load_2addr_b64 v[80:83], v146 offset0:118 offset1:203
	ds_load_2addr_b64 v[72:75], v147 offset0:56 offset1:141
	ds_load_2addr_b64 v[68:71], v139 offset1:85
	s_and_saveexec_b32 s2, vcc_lo
	s_cbranch_execz .LBB0_7
; %bb.6:
	ds_load_b64 v[133:134], v139 offset:2040
	ds_load_b64 v[135:136], v139 offset:4352
	;; [unrolled: 1-line block ×5, first 2 shown]
.LBB0_7:
	s_wait_alu 0xfffe
	s_or_b32 exec_lo, exec_lo, s2
	s_wait_dscnt 0x5
	v_dual_mul_f32 v92, v25, v67 :: v_dual_mul_f32 v93, v27, v89
	v_mul_f32_e32 v25, v25, v66
	s_wait_dscnt 0x4
	v_dual_mul_f32 v27, v27, v88 :: v_dual_mul_f32 v94, v13, v79
	s_delay_alu instid0(VALU_DEP_3) | instskip(NEXT) | instid1(VALU_DEP_3)
	v_dual_fmac_f32 v92, v24, v66 :: v_dual_fmac_f32 v93, v26, v88
	v_fma_f32 v24, v24, v67, -v25
	s_delay_alu instid0(VALU_DEP_3)
	v_fma_f32 v25, v26, v89, -v27
	s_wait_dscnt 0x3
	v_dual_mul_f32 v26, v15, v85 :: v_dual_mul_f32 v13, v13, v78
	s_wait_dscnt 0x2
	v_mul_f32_e32 v27, v29, v81
	v_dual_mul_f32 v29, v29, v80 :: v_dual_fmac_f32 v94, v12, v78
	v_mul_f32_e32 v15, v15, v84
	v_fmac_f32_e32 v26, v14, v84
	v_fma_f32 v66, v12, v79, -v13
	v_mul_f32_e32 v12, v31, v90
	v_dual_mul_f32 v78, v23, v87 :: v_dual_fmac_f32 v27, v28, v80
	v_fma_f32 v28, v28, v81, -v29
	v_mul_f32_e32 v29, v31, v91
	v_fma_f32 v67, v14, v85, -v15
	s_wait_dscnt 0x1
	v_mul_f32_e32 v31, v21, v73
	v_mul_f32_e32 v13, v21, v72
	;; [unrolled: 1-line block ×3, first 2 shown]
	v_dual_fmac_f32 v29, v30, v90 :: v_dual_mul_f32 v14, v19, v76
	v_fma_f32 v30, v30, v91, -v12
	v_dual_mul_f32 v12, v23, v86 :: v_dual_fmac_f32 v31, v20, v72
	v_fma_f32 v72, v20, v73, -v13
	v_sub_f32_e32 v15, v24, v67
	v_mul_f32_e32 v13, v17, v82
	s_delay_alu instid0(VALU_DEP_4)
	v_fma_f32 v80, v22, v87, -v12
	v_add_f32_e32 v12, v93, v94
	v_mul_f32_e32 v73, v17, v83
	v_fmac_f32_e32 v79, v18, v76
	v_fma_f32 v81, v16, v83, -v13
	v_fma_f32 v76, v18, v77, -v14
	v_dual_mul_f32 v77, v9, v75 :: v_dual_add_f32 v18, v92, v26
	s_wait_dscnt 0x0
	v_dual_mul_f32 v13, v9, v74 :: v_dual_add_f32 v14, v68, v92
	v_fma_f32 v9, -0.5, v12, v68
	v_sub_f32_e32 v17, v25, v66
	v_fmac_f32_e32 v77, v8, v74
	s_delay_alu instid0(VALU_DEP_4) | instskip(NEXT) | instid1(VALU_DEP_4)
	v_fma_f32 v8, v8, v75, -v13
	v_dual_add_f32 v13, v14, v93 :: v_dual_fmamk_f32 v12, v15, 0xbf737871, v9
	v_fmac_f32_e32 v73, v16, v82
	v_sub_f32_e32 v14, v92, v93
	v_sub_f32_e32 v16, v26, v94
	v_mul_f32_e32 v82, v11, v138
	v_dual_mul_f32 v11, v11, v137 :: v_dual_add_f32 v20, v69, v24
	v_fmac_f32_e32 v78, v22, v86
	s_delay_alu instid0(VALU_DEP_4)
	v_add_f32_e32 v19, v14, v16
	v_fma_f32 v14, -0.5, v18, v68
	v_fmac_f32_e32 v82, v10, v137
	v_fma_f32 v11, v10, v138, -v11
	v_sub_f32_e32 v10, v93, v92
	v_add_f32_e32 v13, v13, v94
	v_fmamk_f32 v18, v17, 0x3f737871, v14
	v_sub_f32_e32 v23, v93, v94
	v_add_f32_e32 v68, v27, v78
	s_delay_alu instid0(VALU_DEP_4) | instskip(NEXT) | instid1(VALU_DEP_4)
	v_dual_sub_f32 v75, v11, v8 :: v_dual_add_f32 v16, v13, v26
	v_fmac_f32_e32 v18, 0xbf167918, v15
	v_dual_fmac_f32 v14, 0xbf737871, v17 :: v_dual_sub_f32 v13, v94, v26
	v_fmac_f32_e32 v12, 0xbf167918, v17
	global_wb scope:SCOPE_SE
	s_barrier_signal -1
	v_fmac_f32_e32 v14, 0x3f167918, v15
	v_dual_fmac_f32 v9, 0x3f737871, v15 :: v_dual_add_f32 v22, v10, v13
	v_dual_add_f32 v13, v20, v25 :: v_dual_sub_f32 v20, v67, v66
	s_barrier_wait -1
	s_delay_alu instid0(VALU_DEP_2) | instskip(NEXT) | instid1(VALU_DEP_3)
	v_fmac_f32_e32 v9, 0x3f167918, v17
	v_fmac_f32_e32 v18, 0x3e9e377a, v22
	;; [unrolled: 1-line block ×4, first 2 shown]
	global_inv scope:SCOPE_SE
	v_fmac_f32_e32 v9, 0x3e9e377a, v19
	v_sub_f32_e32 v19, v24, v25
	v_dual_add_f32 v21, v25, v66 :: v_dual_sub_f32 v74, v79, v77
	s_delay_alu instid0(VALU_DEP_2) | instskip(NEXT) | instid1(VALU_DEP_2)
	v_add_f32_e32 v22, v19, v20
	v_fma_f32 v10, -0.5, v21, v69
	v_dual_sub_f32 v21, v92, v26 :: v_dual_sub_f32 v20, v25, v24
	v_add_f32_e32 v17, v13, v66
	v_add_f32_e32 v25, v29, v31
	s_delay_alu instid0(VALU_DEP_3) | instskip(NEXT) | instid1(VALU_DEP_3)
	v_dual_add_f32 v26, v70, v27 :: v_dual_fmamk_f32 v13, v21, 0x3f737871, v10
	v_dual_fmac_f32 v10, 0xbf737871, v21 :: v_dual_add_f32 v17, v17, v67
	s_delay_alu instid0(VALU_DEP_1) | instskip(SKIP_3) | instid1(VALU_DEP_4)
	v_fmac_f32_e32 v10, 0xbf167918, v23
	v_add_f32_e32 v15, v24, v67
	v_sub_f32_e32 v24, v66, v67
	v_dual_fmac_f32 v13, 0x3f167918, v23 :: v_dual_sub_f32 v66, v30, v72
	v_fmac_f32_e32 v10, 0x3e9e377a, v22
	s_delay_alu instid0(VALU_DEP_4) | instskip(NEXT) | instid1(VALU_DEP_4)
	v_fma_f32 v15, -0.5, v15, v69
	v_add_f32_e32 v24, v20, v24
	v_fma_f32 v20, -0.5, v25, v70
	v_sub_f32_e32 v25, v28, v80
	v_sub_f32_e32 v67, v78, v31
	v_fmamk_f32 v19, v23, 0xbf737871, v15
	v_fmac_f32_e32 v15, 0x3f737871, v23
	v_add_f32_e32 v23, v26, v29
	v_dual_sub_f32 v26, v27, v29 :: v_dual_fmac_f32 v13, 0x3e9e377a, v22
	v_fmamk_f32 v22, v25, 0xbf737871, v20
	v_fma_f32 v70, -0.5, v68, v70
	v_dual_fmac_f32 v19, 0x3f167918, v21 :: v_dual_add_f32 v68, v71, v28
	s_delay_alu instid0(VALU_DEP_3) | instskip(SKIP_2) | instid1(VALU_DEP_4)
	v_dual_add_f32 v69, v30, v72 :: v_dual_fmac_f32 v22, 0xbf167918, v66
	v_fmac_f32_e32 v20, 0x3f737871, v25
	v_fmac_f32_e32 v15, 0xbf167918, v21
	v_fmac_f32_e32 v19, 0x3e9e377a, v24
	s_delay_alu instid0(VALU_DEP_3)
	v_dual_fmac_f32 v20, 0x3f167918, v66 :: v_dual_add_f32 v21, v23, v31
	v_add_f32_e32 v23, v26, v67
	v_dual_fmamk_f32 v26, v66, 0x3f737871, v70 :: v_dual_sub_f32 v67, v31, v78
	v_fmac_f32_e32 v70, 0xbf737871, v66
	v_add_f32_e32 v66, v68, v30
	v_sub_f32_e32 v68, v27, v78
	s_delay_alu instid0(VALU_DEP_4)
	v_fmac_f32_e32 v26, 0xbf167918, v25
	v_dual_fmac_f32 v15, 0x3e9e377a, v24 :: v_dual_fmac_f32 v20, 0x3e9e377a, v23
	v_add_f32_e32 v24, v21, v78
	v_dual_sub_f32 v21, v29, v27 :: v_dual_fmac_f32 v70, 0x3f167918, v25
	v_add_f32_e32 v25, v66, v72
	v_sub_f32_e32 v29, v29, v31
	v_sub_f32_e32 v31, v28, v30
	s_delay_alu instid0(VALU_DEP_4)
	v_dual_sub_f32 v66, v80, v72 :: v_dual_add_f32 v67, v21, v67
	v_fma_f32 v21, -0.5, v69, v71
	v_fmac_f32_e32 v22, 0x3e9e377a, v23
	v_sub_f32_e32 v69, v81, v11
	v_add_f32_e32 v27, v28, v80
	v_add_f32_e32 v31, v31, v66
	v_dual_fmamk_f32 v23, v68, 0x3f737871, v21 :: v_dual_add_f32 v66, v79, v77
	v_sub_f32_e32 v28, v30, v28
	v_sub_f32_e32 v30, v72, v80
	v_fmac_f32_e32 v70, 0x3e9e377a, v67
	v_dual_fmac_f32 v26, 0x3e9e377a, v67 :: v_dual_add_f32 v25, v25, v80
	v_fmac_f32_e32 v21, 0xbf737871, v68
	s_delay_alu instid0(VALU_DEP_4) | instskip(SKIP_3) | instid1(VALU_DEP_3)
	v_add_f32_e32 v67, v28, v30
	v_fma_f32 v28, -0.5, v66, v64
	v_dual_sub_f32 v66, v73, v79 :: v_dual_fmac_f32 v23, 0x3f167918, v29
	v_add_f32_e32 v72, v73, v82
	v_dual_fmamk_f32 v30, v69, 0xbf737871, v28 :: v_dual_fmac_f32 v71, -0.5, v27
	v_fmac_f32_e32 v21, 0xbf167918, v29
	v_fmac_f32_e32 v28, 0x3f737871, v69
	s_delay_alu instid0(VALU_DEP_3) | instskip(SKIP_1) | instid1(VALU_DEP_4)
	v_fmamk_f32 v27, v29, 0xbf737871, v71
	v_fmac_f32_e32 v71, 0x3f737871, v29
	v_fmac_f32_e32 v21, 0x3e9e377a, v31
	v_add_f32_e32 v29, v64, v73
	v_fma_f32 v64, -0.5, v72, v64
	v_dual_sub_f32 v72, v77, v82 :: v_dual_fmac_f32 v27, 0x3f167918, v68
	v_dual_fmac_f32 v71, 0xbf167918, v68 :: v_dual_sub_f32 v68, v82, v77
	s_delay_alu instid0(VALU_DEP_1) | instskip(SKIP_1) | instid1(VALU_DEP_1)
	v_dual_add_f32 v68, v66, v68 :: v_dual_fmac_f32 v23, 0x3e9e377a, v31
	v_sub_f32_e32 v31, v76, v8
	v_fmac_f32_e32 v30, 0xbf167918, v31
	v_fmac_f32_e32 v28, 0x3f167918, v31
	s_delay_alu instid0(VALU_DEP_2) | instskip(NEXT) | instid1(VALU_DEP_2)
	v_fmac_f32_e32 v30, 0x3e9e377a, v68
	v_fmac_f32_e32 v28, 0x3e9e377a, v68
	v_fmamk_f32 v68, v31, 0x3f737871, v64
	v_fmac_f32_e32 v27, 0x3e9e377a, v67
	s_delay_alu instid0(VALU_DEP_2) | instskip(SKIP_2) | instid1(VALU_DEP_1)
	v_fmac_f32_e32 v68, 0xbf167918, v69
	v_fmac_f32_e32 v71, 0x3e9e377a, v67
	v_sub_f32_e32 v67, v79, v73
	v_dual_add_f32 v67, v67, v72 :: v_dual_add_f32 v72, v81, v11
	v_fmac_f32_e32 v64, 0xbf737871, v31
	v_add_f32_e32 v29, v29, v79
	s_delay_alu instid0(VALU_DEP_3) | instskip(NEXT) | instid1(VALU_DEP_3)
	v_dual_add_f32 v31, v65, v81 :: v_dual_fmac_f32 v68, 0x3e9e377a, v67
	v_fmac_f32_e32 v64, 0x3f167918, v69
	s_delay_alu instid0(VALU_DEP_3) | instskip(NEXT) | instid1(VALU_DEP_2)
	v_add_f32_e32 v29, v29, v77
	v_dual_add_f32 v69, v31, v76 :: v_dual_fmac_f32 v64, 0x3e9e377a, v67
	s_delay_alu instid0(VALU_DEP_2) | instskip(NEXT) | instid1(VALU_DEP_2)
	v_dual_add_f32 v66, v29, v82 :: v_dual_add_f32 v29, v76, v8
	v_dual_add_f32 v67, v69, v8 :: v_dual_sub_f32 v8, v8, v11
	s_delay_alu instid0(VALU_DEP_2) | instskip(SKIP_4) | instid1(VALU_DEP_3)
	v_fma_f32 v29, -0.5, v29, v65
	v_fmac_f32_e32 v65, -0.5, v72
	v_sub_f32_e32 v72, v81, v76
	v_dual_sub_f32 v73, v73, v82 :: v_dual_sub_f32 v76, v76, v81
	v_add_f32_e32 v67, v67, v11
	v_dual_fmamk_f32 v69, v74, 0xbf737871, v65 :: v_dual_add_f32 v72, v72, v75
	s_delay_alu instid0(VALU_DEP_3) | instskip(NEXT) | instid1(VALU_DEP_4)
	v_dual_fmac_f32 v65, 0x3f737871, v74 :: v_dual_add_f32 v8, v76, v8
	v_fmamk_f32 v31, v73, 0x3f737871, v29
	s_delay_alu instid0(VALU_DEP_3) | instskip(SKIP_1) | instid1(VALU_DEP_4)
	v_fmac_f32_e32 v69, 0x3f167918, v73
	v_fmac_f32_e32 v29, 0xbf737871, v73
	;; [unrolled: 1-line block ×3, first 2 shown]
	s_delay_alu instid0(VALU_DEP_4) | instskip(NEXT) | instid1(VALU_DEP_4)
	v_fmac_f32_e32 v31, 0x3f167918, v74
	v_fmac_f32_e32 v69, 0x3e9e377a, v8
	s_delay_alu instid0(VALU_DEP_4) | instskip(NEXT) | instid1(VALU_DEP_4)
	v_fmac_f32_e32 v29, 0xbf167918, v74
	v_fmac_f32_e32 v65, 0x3e9e377a, v8
	scratch_load_b32 v8, off, off offset:60 th:TH_LOAD_LU ; 4-byte Folded Reload
	v_fmac_f32_e32 v31, 0x3e9e377a, v72
	s_wait_loadcnt 0x0
	ds_store_2addr_b64 v8, v[16:17], v[12:13] offset1:17
	ds_store_2addr_b64 v8, v[18:19], v[14:15] offset0:34 offset1:51
	ds_store_b64 v8, v[9:10] offset:544
	scratch_load_b32 v8, off, off offset:56 th:TH_LOAD_LU ; 4-byte Folded Reload
	v_fmac_f32_e32 v29, 0x3e9e377a, v72
	s_wait_loadcnt 0x0
	ds_store_2addr_b64 v8, v[24:25], v[22:23] offset1:17
	ds_store_2addr_b64 v8, v[26:27], v[70:71] offset0:34 offset1:51
	ds_store_b64 v8, v[20:21] offset:544
	scratch_load_b32 v8, off, off offset:52 th:TH_LOAD_LU ; 4-byte Folded Reload
	s_wait_loadcnt 0x0
	ds_store_2addr_b64 v8, v[66:67], v[30:31] offset1:17
	ds_store_2addr_b64 v8, v[68:69], v[64:65] offset0:34 offset1:51
	ds_store_b64 v8, v[28:29] offset:544
	s_and_saveexec_b32 s2, vcc_lo
	s_cbranch_execz .LBB0_9
; %bb.8:
	v_dual_mul_f32 v8, v5, v135 :: v_dual_mul_f32 v9, v3, v129
	v_dual_mul_f32 v10, v7, v131 :: v_dual_mul_f32 v13, v5, v136
	v_mul_f32_e32 v12, v1, v128
	v_mul_f32_e32 v11, v7, v132
	s_delay_alu instid0(VALU_DEP_4) | instskip(SKIP_4) | instid1(VALU_DEP_4)
	v_fma_f32 v8, v4, v136, -v8
	v_fma_f32 v9, v2, v130, -v9
	v_mul_f32_e32 v1, v1, v127
	v_fma_f32 v10, v6, v132, -v10
	v_fmac_f32_e32 v12, v0, v127
	v_dual_fmac_f32 v11, v6, v131 :: v_dual_add_f32 v6, v8, v9
	v_dual_mul_f32 v14, v3, v130 :: v_dual_fmac_f32 v13, v4, v135
	v_fma_f32 v15, v0, v128, -v1
	s_delay_alu instid0(VALU_DEP_3) | instskip(NEXT) | instid1(VALU_DEP_4)
	v_sub_f32_e32 v16, v11, v12
	v_fma_f32 v1, -0.5, v6, v134
	s_delay_alu instid0(VALU_DEP_3) | instskip(NEXT) | instid1(VALU_DEP_2)
	v_add_f32_e32 v5, v10, v15
	v_dual_fmac_f32 v14, v2, v129 :: v_dual_fmamk_f32 v3, v16, 0x3f737871, v1
	v_dual_sub_f32 v2, v15, v9 :: v_dual_fmac_f32 v1, 0xbf737871, v16
	s_delay_alu instid0(VALU_DEP_3) | instskip(NEXT) | instid1(VALU_DEP_3)
	v_fma_f32 v5, -0.5, v5, v134
	v_sub_f32_e32 v4, v13, v14
	v_sub_f32_e32 v0, v10, v8
	v_dual_sub_f32 v17, v10, v15 :: v_dual_sub_f32 v18, v12, v14
	s_delay_alu instid0(VALU_DEP_3) | instskip(SKIP_1) | instid1(VALU_DEP_4)
	v_fmac_f32_e32 v3, 0xbf167918, v4
	v_fmamk_f32 v7, v4, 0xbf737871, v5
	v_add_f32_e32 v0, v0, v2
	s_delay_alu instid0(VALU_DEP_2) | instskip(NEXT) | instid1(VALU_DEP_2)
	v_dual_sub_f32 v2, v8, v10 :: v_dual_fmac_f32 v7, 0xbf167918, v16
	v_fmac_f32_e32 v3, 0x3e9e377a, v0
	v_dual_fmac_f32 v1, 0x3f167918, v4 :: v_dual_sub_f32 v6, v9, v15
	v_fmac_f32_e32 v5, 0x3f737871, v4
	s_delay_alu instid0(VALU_DEP_2) | instskip(NEXT) | instid1(VALU_DEP_3)
	v_dual_fmac_f32 v1, 0x3e9e377a, v0 :: v_dual_add_f32 v0, v13, v14
	v_add_f32_e32 v6, v2, v6
	v_add_f32_e32 v2, v134, v8
	s_delay_alu instid0(VALU_DEP_4) | instskip(NEXT) | instid1(VALU_DEP_4)
	v_dual_fmac_f32 v5, 0x3f167918, v16 :: v_dual_sub_f32 v8, v8, v9
	v_fma_f32 v0, -0.5, v0, v133
	s_delay_alu instid0(VALU_DEP_4) | instskip(NEXT) | instid1(VALU_DEP_4)
	v_fmac_f32_e32 v7, 0x3e9e377a, v6
	v_add_f32_e32 v4, v2, v10
	s_delay_alu instid0(VALU_DEP_4) | instskip(SKIP_1) | instid1(VALU_DEP_3)
	v_dual_sub_f32 v10, v11, v13 :: v_dual_fmac_f32 v5, 0x3e9e377a, v6
	v_sub_f32_e32 v16, v14, v12
	v_dual_add_f32 v4, v4, v15 :: v_dual_add_f32 v15, v11, v12
	v_fmamk_f32 v2, v17, 0xbf737871, v0
	s_delay_alu instid0(VALU_DEP_2) | instskip(NEXT) | instid1(VALU_DEP_3)
	v_dual_add_f32 v10, v10, v18 :: v_dual_add_f32 v9, v4, v9
	v_fma_f32 v4, -0.5, v15, v133
	v_add_f32_e32 v15, v133, v13
	s_delay_alu instid0(VALU_DEP_4) | instskip(NEXT) | instid1(VALU_DEP_2)
	v_dual_sub_f32 v13, v13, v11 :: v_dual_fmac_f32 v2, 0x3f167918, v8
	v_add_f32_e32 v11, v15, v11
	s_clause 0x1
	scratch_load_b32 v15, off, off offset:44 th:TH_LOAD_LU
	scratch_load_b32 v18, off, off offset:48 th:TH_LOAD_LU
	v_fmamk_f32 v6, v8, 0x3f737871, v4
	v_fmac_f32_e32 v4, 0xbf737871, v8
	v_dual_fmac_f32 v2, 0x3e9e377a, v10 :: v_dual_add_f32 v13, v13, v16
	s_delay_alu instid0(VALU_DEP_3) | instskip(NEXT) | instid1(VALU_DEP_3)
	v_dual_add_f32 v11, v11, v12 :: v_dual_fmac_f32 v6, 0x3f167918, v17
	v_fmac_f32_e32 v4, 0xbf167918, v17
	s_delay_alu instid0(VALU_DEP_2) | instskip(NEXT) | instid1(VALU_DEP_2)
	v_fmac_f32_e32 v6, 0x3e9e377a, v13
	v_fmac_f32_e32 v4, 0x3e9e377a, v13
	s_wait_loadcnt 0x0
	v_mad_u16 v15, 0x55, v15, v18
	s_delay_alu instid0(VALU_DEP_1) | instskip(SKIP_1) | instid1(VALU_DEP_1)
	v_and_b32_e32 v12, 0xffff, v15
	v_fmac_f32_e32 v0, 0x3f737871, v17
	v_fmac_f32_e32 v0, 0xbf167918, v8
	s_delay_alu instid0(VALU_DEP_3) | instskip(NEXT) | instid1(VALU_DEP_2)
	v_dual_add_f32 v8, v11, v14 :: v_dual_lshlrev_b32 v11, 3, v12
	v_fmac_f32_e32 v0, 0x3e9e377a, v10
	ds_store_2addr_b64 v11, v[8:9], v[4:5] offset1:17
	ds_store_2addr_b64 v11, v[0:1], v[2:3] offset0:34 offset1:51
	ds_store_b64 v11, v[6:7] offset:544
.LBB0_9:
	s_wait_alu 0xfffe
	s_or_b32 exec_lo, exec_lo, s2
	global_wb scope:SCOPE_SE
	s_wait_dscnt 0x0
	s_barrier_signal -1
	s_barrier_wait -1
	global_inv scope:SCOPE_SE
	ds_load_2addr_b64 v[26:29], v139 offset1:85
	ds_load_2addr_b64 v[8:11], v139 offset0:170 offset1:255
	v_add_nc_u32_e32 v7, 0x800, v139
	v_add_nc_u32_e32 v6, 0xc00, v139
	;; [unrolled: 1-line block ×4, first 2 shown]
	s_mov_b32 s2, 0xda71079e
	s_mov_b32 s3, 0x3f46ad43
	s_wait_dscnt 0x0
	v_dual_mul_f32 v30, v45, v29 :: v_dual_mul_f32 v17, v47, v8
	ds_load_2addr_b64 v[12:15], v7 offset0:84 offset1:169
	v_mul_f32_e32 v31, v47, v9
	v_dual_fmac_f32 v30, v44, v28 :: v_dual_add_nc_u32 v3, 0x1c00, v139
	v_add_nc_u32_e32 v2, 0x2000, v139
	v_mul_f32_e32 v16, v45, v28
	s_delay_alu instid0(VALU_DEP_4)
	v_fmac_f32_e32 v31, v46, v8
	ds_load_b64 v[0:1], v139 offset:10880
	ds_load_2addr_b64 v[64:67], v6 offset0:126 offset1:211
	ds_load_2addr_b64 v[68:71], v5 offset0:168 offset1:253
	;; [unrolled: 1-line block ×5, first 2 shown]
	v_mul_f32_e32 v45, v41, v11
	v_fma_f32 v28, v44, v29, -v16
	v_mul_f32_e32 v16, v41, v10
	v_fma_f32 v29, v46, v9, -v17
	s_wait_dscnt 0x6
	v_dual_mul_f32 v24, v43, v13 :: v_dual_fmac_f32 v45, v40, v10
	v_mul_f32_e32 v8, v43, v12
	v_fma_f32 v40, v40, v11, -v16
	s_delay_alu instid0(VALU_DEP_3) | instskip(SKIP_3) | instid1(VALU_DEP_3)
	v_dual_mul_f32 v9, v37, v14 :: v_dual_fmac_f32 v24, v42, v12
	v_dual_add_f32 v11, v27, v28 :: v_dual_mul_f32 v20, v37, v15
	s_wait_dscnt 0x4
	v_mul_f32_e32 v16, v39, v65
	v_fma_f32 v21, v36, v15, -v9
	v_mul_f32_e32 v9, v33, v66
	v_dual_add_f32 v10, v26, v30 :: v_dual_add_f32 v11, v11, v29
	v_fma_f32 v25, v42, v13, -v8
	v_fmac_f32_e32 v20, v36, v14
	v_mul_f32_e32 v12, v33, v67
	v_fma_f32 v13, v32, v67, -v9
	v_add_f32_e32 v11, v11, v40
	s_wait_dscnt 0x3
	v_mul_f32_e32 v9, v61, v71
	v_add_f32_e32 v10, v10, v31
	v_mul_f32_e32 v8, v39, v64
	v_dual_fmac_f32 v12, v32, v66 :: v_dual_add_f32 v19, v11, v25
	s_delay_alu instid0(VALU_DEP_3) | instskip(NEXT) | instid1(VALU_DEP_3)
	v_dual_mul_f32 v18, v61, v70 :: v_dual_add_f32 v15, v10, v45
	v_fma_f32 v17, v38, v65, -v8
	v_dual_fmac_f32 v16, v38, v64 :: v_dual_fmac_f32 v9, v60, v70
	s_delay_alu instid0(VALU_DEP_4) | instskip(NEXT) | instid1(VALU_DEP_4)
	v_add_f32_e32 v19, v19, v21
	v_add_f32_e32 v15, v15, v24
	v_mul_f32_e32 v14, v35, v68
	v_fma_f32 v11, v60, v71, -v18
	s_wait_dscnt 0x2
	v_dual_mul_f32 v32, v53, v74 :: v_dual_add_f32 v19, v19, v17
	v_add_f32_e32 v23, v15, v20
	v_fma_f32 v10, v34, v69, -v14
	v_mul_f32_e32 v18, v53, v75
	s_wait_dscnt 0x0
	v_dual_mul_f32 v38, v49, v83 :: v_dual_mul_f32 v41, v51, v1
	v_add_f32_e32 v23, v23, v16
	v_add_f32_e32 v33, v19, v13
	v_mul_f32_e32 v8, v35, v69
	v_fmac_f32_e32 v18, v52, v74
	v_fma_f32 v19, v52, v75, -v32
	v_add_f32_e32 v23, v23, v12
	s_delay_alu instid0(VALU_DEP_4) | instskip(SKIP_2) | instid1(VALU_DEP_3)
	v_dual_add_f32 v33, v33, v10 :: v_dual_fmac_f32 v8, v34, v68
	v_mul_f32_e32 v32, v55, v76
	v_dual_fmac_f32 v38, v48, v82 :: v_dual_fmac_f32 v41, v50, v0
	v_dual_add_f32 v33, v33, v11 :: v_dual_add_f32 v34, v23, v8
	v_mul_f32_e32 v22, v63, v72
	s_delay_alu instid0(VALU_DEP_4) | instskip(SKIP_1) | instid1(VALU_DEP_4)
	v_fma_f32 v23, v54, v77, -v32
	v_mul_f32_e32 v39, v51, v0
	v_dual_mul_f32 v35, v57, v79 :: v_dual_add_f32 v32, v34, v9
	v_mul_f32_e32 v14, v63, v73
	v_fma_f32 v15, v62, v73, -v22
	v_mul_f32_e32 v42, v49, v82
	v_fma_f32 v1, v50, v1, -v39
	v_fmac_f32_e32 v35, v56, v78
	v_dual_mul_f32 v36, v57, v78 :: v_dual_mul_f32 v37, v59, v80
	v_dual_add_f32 v33, v33, v15 :: v_dual_fmac_f32 v14, v62, v72
	v_fma_f32 v39, v48, v83, -v42
	v_sub_f32_e32 v42, v28, v1
	s_delay_alu instid0(VALU_DEP_3) | instskip(SKIP_2) | instid1(VALU_DEP_4)
	v_dual_add_f32 v28, v28, v1 :: v_dual_add_f32 v33, v33, v19
	v_mul_f32_e32 v22, v55, v77
	v_fma_f32 v34, v56, v79, -v36
	v_dual_mul_f32 v36, v59, v81 :: v_dual_mul_f32 v43, 0xbeb8f4ab, v42
	s_delay_alu instid0(VALU_DEP_4) | instskip(SKIP_2) | instid1(VALU_DEP_4)
	v_mul_f32_e32 v44, 0x3f6eb680, v28
	v_dual_add_f32 v32, v32, v14 :: v_dual_add_f32 v33, v33, v23
	v_fmac_f32_e32 v22, v54, v76
	v_fmac_f32_e32 v36, v58, v80
	v_fma_f32 v37, v58, v81, -v37
	s_delay_alu instid0(VALU_DEP_4) | instskip(SKIP_3) | instid1(VALU_DEP_4)
	v_add_f32_e32 v32, v32, v18
	v_add_f32_e32 v33, v33, v34
	v_mul_f32_e32 v49, 0xbf65296c, v42
	v_mul_f32_e32 v51, 0x3ee437d1, v28
	v_dual_sub_f32 v71, v29, v39 :: v_dual_add_f32 v32, v32, v22
	v_add_f32_e32 v29, v29, v39
	s_delay_alu instid0(VALU_DEP_1) | instskip(NEXT) | instid1(VALU_DEP_1)
	v_dual_add_f32 v32, v32, v35 :: v_dual_mul_f32 v73, 0xbf1a4643, v29
	v_add_f32_e32 v0, v32, v36
	v_add_f32_e32 v32, v33, v37
	;; [unrolled: 1-line block ×3, first 2 shown]
	v_sub_f32_e32 v30, v30, v41
	s_delay_alu instid0(VALU_DEP_2) | instskip(NEXT) | instid1(VALU_DEP_2)
	v_fmamk_f32 v52, v33, 0x3ee437d1, v49
	v_fmamk_f32 v53, v30, 0x3f65296c, v51
	v_fmac_f32_e32 v51, 0xbf65296c, v30
	v_add_f32_e32 v0, v0, v38
	v_fma_f32 v49, 0x3ee437d1, v33, -v49
	s_delay_alu instid0(VALU_DEP_4) | instskip(NEXT) | instid1(VALU_DEP_4)
	v_add_f32_e32 v53, v27, v53
	v_add_f32_e32 v51, v27, v51
	v_dual_add_f32 v32, v32, v39 :: v_dual_mul_f32 v55, 0x3dbcf732, v28
	v_mul_f32_e32 v63, 0xbf1a4643, v28
	v_add_f32_e32 v49, v26, v49
	v_mul_f32_e32 v67, 0xbf59a7d5, v28
	s_delay_alu instid0(VALU_DEP_4) | instskip(SKIP_1) | instid1(VALU_DEP_2)
	v_dual_add_f32 v1, v32, v1 :: v_dual_mul_f32 v32, 0xbf2c7751, v42
	v_dual_mul_f32 v60, 0xbe8c1d8e, v28 :: v_dual_add_f32 v39, v31, v38
	v_fmamk_f32 v47, v33, 0x3f3d2fb0, v32
	v_dual_mul_f32 v57, 0xbf763a35, v42 :: v_dual_add_f32 v0, v0, v41
	v_fmamk_f32 v58, v30, 0x3f7ee86f, v55
	v_fmac_f32_e32 v55, 0xbf7ee86f, v30
	v_fmamk_f32 v46, v33, 0x3f6eb680, v43
	s_delay_alu instid0(VALU_DEP_4) | instskip(NEXT) | instid1(VALU_DEP_4)
	v_fmamk_f32 v59, v33, 0xbe8c1d8e, v57
	v_dual_fmamk_f32 v41, v30, 0x3eb8f4ab, v44 :: v_dual_add_f32 v58, v27, v58
	s_delay_alu instid0(VALU_DEP_3) | instskip(NEXT) | instid1(VALU_DEP_3)
	v_dual_add_f32 v55, v27, v55 :: v_dual_add_f32 v46, v26, v46
	v_add_f32_e32 v59, v26, v59
	v_fma_f32 v32, 0x3f3d2fb0, v33, -v32
	v_fma_f32 v57, 0xbe8c1d8e, v33, -v57
	v_fmac_f32_e32 v44, 0xbeb8f4ab, v30
	v_fmamk_f32 v65, v30, 0x3f4c4adb, v63
	v_mul_f32_e32 v48, 0x3f3d2fb0, v28
	v_dual_add_f32 v32, v26, v32 :: v_dual_fmac_f32 v63, 0xbf4c4adb, v30
	v_mul_f32_e32 v61, 0xbf4c4adb, v42
	v_dual_add_f32 v57, v26, v57 :: v_dual_add_f32 v44, v27, v44
	s_delay_alu instid0(VALU_DEP_4) | instskip(NEXT) | instid1(VALU_DEP_3)
	v_dual_add_f32 v65, v27, v65 :: v_dual_fmamk_f32 v50, v30, 0x3f2c7751, v48
	v_dual_add_f32 v63, v27, v63 :: v_dual_fmamk_f32 v64, v33, 0xbf1a4643, v61
	v_fma_f32 v61, 0xbf1a4643, v33, -v61
	v_fmac_f32_e32 v48, 0xbf2c7751, v30
	s_delay_alu instid0(VALU_DEP_4) | instskip(NEXT) | instid1(VALU_DEP_3)
	v_dual_add_f32 v50, v27, v50 :: v_dual_fmamk_f32 v69, v30, 0x3f06c442, v67
	v_dual_mul_f32 v54, 0xbf7ee86f, v42 :: v_dual_add_f32 v61, v26, v61
	s_delay_alu instid0(VALU_DEP_3) | instskip(SKIP_1) | instid1(VALU_DEP_3)
	v_add_f32_e32 v48, v27, v48
	v_dual_add_f32 v52, v26, v52 :: v_dual_fmac_f32 v67, 0xbf06c442, v30
	v_dual_add_f32 v69, v27, v69 :: v_dual_fmamk_f32 v56, v33, 0x3dbcf732, v54
	v_dual_add_f32 v47, v26, v47 :: v_dual_mul_f32 v66, 0xbf06c442, v42
	v_mul_f32_e32 v42, 0xbe3c28d5, v42
	s_delay_alu instid0(VALU_DEP_4) | instskip(NEXT) | instid1(VALU_DEP_4)
	v_dual_mul_f32 v28, 0xbf7ba420, v28 :: v_dual_add_f32 v67, v27, v67
	v_add_f32_e32 v56, v26, v56
	v_fma_f32 v43, 0x3f6eb680, v33, -v43
	v_fma_f32 v54, 0x3dbcf732, v33, -v54
	v_fmamk_f32 v68, v33, 0xbf59a7d5, v66
	v_fma_f32 v66, 0xbf59a7d5, v33, -v66
	v_fmamk_f32 v70, v33, 0xbf7ba420, v42
	v_fmamk_f32 v72, v30, 0x3e3c28d5, v28
	v_fma_f32 v33, 0xbf7ba420, v33, -v42
	v_mul_f32_e32 v42, 0xbf2c7751, v71
	v_add_f32_e32 v43, v26, v43
	v_add_f32_e32 v54, v26, v54
	v_fmac_f32_e32 v28, 0xbe3c28d5, v30
	v_fmamk_f32 v62, v30, 0x3f763a35, v60
	v_fmac_f32_e32 v60, 0xbf763a35, v30
	v_dual_sub_f32 v30, v31, v38 :: v_dual_mul_f32 v31, 0x3f3d2fb0, v29
	v_add_f32_e32 v38, v27, v72
	v_fmamk_f32 v72, v39, 0x3f3d2fb0, v42
	v_fma_f32 v42, 0x3f3d2fb0, v39, -v42
	v_add_f32_e32 v41, v27, v41
	v_add_f32_e32 v62, v27, v62
	;; [unrolled: 1-line block ×5, first 2 shown]
	v_dual_add_f32 v70, v26, v70 :: v_dual_add_f32 v27, v27, v28
	v_fmamk_f32 v28, v30, 0x3f2c7751, v31
	v_add_f32_e32 v42, v42, v43
	v_dual_mul_f32 v43, 0xbf4c4adb, v71 :: v_dual_add_f32 v66, v26, v66
	v_dual_add_f32 v26, v26, v33 :: v_dual_mul_f32 v33, 0xbf7ee86f, v71
	s_delay_alu instid0(VALU_DEP_4) | instskip(NEXT) | instid1(VALU_DEP_2)
	v_dual_add_f32 v28, v28, v41 :: v_dual_fmac_f32 v31, 0xbf2c7751, v30
	v_fmamk_f32 v41, v39, 0x3dbcf732, v33
	v_fma_f32 v33, 0x3dbcf732, v39, -v33
	s_delay_alu instid0(VALU_DEP_3) | instskip(NEXT) | instid1(VALU_DEP_3)
	v_add_f32_e32 v31, v31, v44
	v_add_f32_e32 v41, v41, v47
	s_delay_alu instid0(VALU_DEP_3) | instskip(SKIP_1) | instid1(VALU_DEP_2)
	v_dual_fmamk_f32 v47, v39, 0xbf1a4643, v43 :: v_dual_add_f32 v32, v33, v32
	v_fma_f32 v43, 0xbf1a4643, v39, -v43
	v_dual_add_f32 v47, v47, v52 :: v_dual_mul_f32 v52, 0xbf7ba420, v29
	v_add_f32_e32 v46, v72, v46
	v_mul_f32_e32 v72, 0x3dbcf732, v29
	s_delay_alu instid0(VALU_DEP_1) | instskip(SKIP_1) | instid1(VALU_DEP_2)
	v_dual_add_f32 v43, v43, v49 :: v_dual_fmamk_f32 v44, v30, 0x3f7ee86f, v72
	v_fmac_f32_e32 v72, 0xbf7ee86f, v30
	v_add_f32_e32 v44, v44, v50
	s_delay_alu instid0(VALU_DEP_2) | instskip(SKIP_1) | instid1(VALU_DEP_2)
	v_dual_add_f32 v33, v72, v48 :: v_dual_fmamk_f32 v48, v30, 0x3f4c4adb, v73
	v_mul_f32_e32 v50, 0xbe3c28d5, v71
	v_dual_fmac_f32 v73, 0xbf4c4adb, v30 :: v_dual_add_f32 v48, v48, v53
	s_delay_alu instid0(VALU_DEP_2) | instskip(NEXT) | instid1(VALU_DEP_2)
	v_fmamk_f32 v53, v39, 0xbf7ba420, v50
	v_add_f32_e32 v49, v73, v51
	v_fmamk_f32 v51, v30, 0x3e3c28d5, v52
	v_mul_f32_e32 v72, 0x3f06c442, v71
	s_delay_alu instid0(VALU_DEP_4) | instskip(SKIP_1) | instid1(VALU_DEP_4)
	v_dual_fmac_f32 v52, 0xbe3c28d5, v30 :: v_dual_add_f32 v53, v53, v56
	v_mul_f32_e32 v73, 0xbe8c1d8e, v29
	v_add_f32_e32 v51, v51, v58
	s_delay_alu instid0(VALU_DEP_4) | instskip(SKIP_2) | instid1(VALU_DEP_2)
	v_fmamk_f32 v56, v39, 0xbf59a7d5, v72
	v_mul_f32_e32 v58, 0xbf59a7d5, v29
	v_add_f32_e32 v52, v52, v55
	v_dual_add_f32 v55, v56, v59 :: v_dual_fmamk_f32 v56, v30, 0xbf06c442, v58
	v_fmac_f32_e32 v58, 0x3f06c442, v30
	v_fma_f32 v59, 0xbf59a7d5, v39, -v72
	s_delay_alu instid0(VALU_DEP_3) | instskip(NEXT) | instid1(VALU_DEP_3)
	v_add_f32_e32 v56, v56, v62
	v_add_f32_e32 v58, v58, v60
	v_fmamk_f32 v60, v30, 0xbf763a35, v73
	s_delay_alu instid0(VALU_DEP_4) | instskip(NEXT) | instid1(VALU_DEP_2)
	v_dual_mul_f32 v62, 0x3f65296c, v71 :: v_dual_add_f32 v57, v59, v57
	v_dual_fmac_f32 v73, 0x3f763a35, v30 :: v_dual_add_f32 v60, v60, v65
	s_delay_alu instid0(VALU_DEP_2) | instskip(SKIP_1) | instid1(VALU_DEP_3)
	v_fmamk_f32 v65, v39, 0x3ee437d1, v62
	v_fma_f32 v62, 0x3ee437d1, v39, -v62
	v_add_f32_e32 v63, v73, v63
	s_delay_alu instid0(VALU_DEP_2) | instskip(SKIP_3) | instid1(VALU_DEP_2)
	v_dual_add_f32 v65, v65, v68 :: v_dual_add_f32 v62, v62, v66
	v_sub_f32_e32 v66, v40, v37
	v_add_f32_e32 v37, v40, v37
	v_fma_f32 v50, 0xbf7ba420, v39, -v50
	v_mul_f32_e32 v40, 0x3ee437d1, v37
	s_delay_alu instid0(VALU_DEP_2) | instskip(SKIP_2) | instid1(VALU_DEP_2)
	v_add_f32_e32 v50, v50, v54
	v_mul_f32_e32 v54, 0x3f763a35, v71
	v_mul_f32_e32 v71, 0x3eb8f4ab, v71
	v_fmamk_f32 v72, v39, 0xbe8c1d8e, v54
	v_fma_f32 v54, 0xbe8c1d8e, v39, -v54
	s_delay_alu instid0(VALU_DEP_3) | instskip(SKIP_1) | instid1(VALU_DEP_4)
	v_fmamk_f32 v68, v39, 0x3f6eb680, v71
	v_fma_f32 v39, 0x3f6eb680, v39, -v71
	v_dual_add_f32 v59, v72, v64 :: v_dual_mul_f32 v64, 0x3ee437d1, v29
	s_delay_alu instid0(VALU_DEP_4) | instskip(SKIP_1) | instid1(VALU_DEP_3)
	v_add_f32_e32 v54, v54, v61
	v_mul_f32_e32 v29, 0x3f6eb680, v29
	v_fmamk_f32 v61, v30, 0xbf65296c, v64
	s_delay_alu instid0(VALU_DEP_1) | instskip(NEXT) | instid1(VALU_DEP_1)
	v_dual_fmac_f32 v64, 0x3f65296c, v30 :: v_dual_add_f32 v61, v61, v69
	v_add_f32_e32 v64, v64, v67
	v_add_f32_e32 v67, v68, v70
	v_dual_add_f32 v69, v45, v36 :: v_dual_mul_f32 v70, 0xbf65296c, v66
	v_fmamk_f32 v68, v30, 0xbeb8f4ab, v29
	v_dual_fmac_f32 v29, 0x3eb8f4ab, v30 :: v_dual_sub_f32 v30, v45, v36
	v_add_f32_e32 v26, v39, v26
	s_delay_alu instid0(VALU_DEP_4) | instskip(SKIP_1) | instid1(VALU_DEP_4)
	v_fmamk_f32 v36, v69, 0x3ee437d1, v70
	v_mul_f32_e32 v39, 0xbf4c4adb, v66
	v_add_f32_e32 v27, v29, v27
	v_fma_f32 v45, 0x3ee437d1, v69, -v70
	v_add_f32_e32 v38, v68, v38
	v_dual_add_f32 v29, v36, v46 :: v_dual_fmamk_f32 v36, v30, 0x3f65296c, v40
	v_fmac_f32_e32 v40, 0xbf65296c, v30
	v_mul_f32_e32 v46, 0xbf1a4643, v37
	v_add_f32_e32 v42, v45, v42
	s_delay_alu instid0(VALU_DEP_4) | instskip(NEXT) | instid1(VALU_DEP_4)
	v_dual_mul_f32 v45, 0x3e3c28d5, v66 :: v_dual_add_f32 v28, v36, v28
	v_dual_fmamk_f32 v36, v69, 0xbf1a4643, v39 :: v_dual_add_f32 v31, v40, v31
	v_fma_f32 v39, 0xbf1a4643, v69, -v39
	v_mul_f32_e32 v68, 0xbe8c1d8e, v37
	s_delay_alu instid0(VALU_DEP_3) | instskip(SKIP_3) | instid1(VALU_DEP_3)
	v_add_f32_e32 v36, v36, v41
	v_fmamk_f32 v40, v30, 0x3f4c4adb, v46
	v_fmac_f32_e32 v46, 0xbf4c4adb, v30
	v_dual_fmamk_f32 v41, v69, 0xbf7ba420, v45 :: v_dual_add_f32 v32, v39, v32
	v_dual_mul_f32 v39, 0x3f763a35, v66 :: v_dual_add_f32 v40, v40, v44
	v_mul_f32_e32 v44, 0xbf7ba420, v37
	s_delay_alu instid0(VALU_DEP_4) | instskip(NEXT) | instid1(VALU_DEP_4)
	v_add_f32_e32 v33, v46, v33
	v_add_f32_e32 v41, v41, v47
	v_fma_f32 v45, 0xbf7ba420, v69, -v45
	v_fmamk_f32 v47, v69, 0xbe8c1d8e, v39
	v_fmamk_f32 v46, v30, 0xbe3c28d5, v44
	v_fma_f32 v39, 0xbe8c1d8e, v69, -v39
	s_delay_alu instid0(VALU_DEP_4) | instskip(NEXT) | instid1(VALU_DEP_3)
	v_add_f32_e32 v43, v45, v43
	v_dual_add_f32 v45, v47, v53 :: v_dual_add_f32 v46, v46, v48
	v_fmamk_f32 v47, v30, 0xbf763a35, v68
	v_mul_f32_e32 v48, 0x3f2c7751, v66
	v_add_f32_e32 v39, v39, v50
	v_mul_f32_e32 v53, 0xbeb8f4ab, v66
	s_delay_alu instid0(VALU_DEP_4) | instskip(NEXT) | instid1(VALU_DEP_4)
	v_add_f32_e32 v47, v47, v51
	v_fmamk_f32 v51, v69, 0x3f3d2fb0, v48
	v_fma_f32 v48, 0x3f3d2fb0, v69, -v48
	s_delay_alu instid0(VALU_DEP_1)
	v_dual_add_f32 v51, v51, v55 :: v_dual_add_f32 v48, v48, v57
	v_mul_f32_e32 v57, 0xbf7ee86f, v66
	v_fmac_f32_e32 v44, 0x3e3c28d5, v30
	v_fmac_f32_e32 v68, 0x3f763a35, v30
	v_fmamk_f32 v55, v69, 0x3f6eb680, v53
	v_fma_f32 v53, 0x3f6eb680, v69, -v53
	s_delay_alu instid0(VALU_DEP_4) | instskip(NEXT) | instid1(VALU_DEP_4)
	v_add_f32_e32 v44, v44, v49
	v_dual_mul_f32 v49, 0x3f3d2fb0, v37 :: v_dual_add_f32 v50, v68, v52
	s_delay_alu instid0(VALU_DEP_4) | instskip(SKIP_1) | instid1(VALU_DEP_3)
	v_dual_add_f32 v55, v55, v59 :: v_dual_mul_f32 v68, 0x3dbcf732, v37
	v_fmamk_f32 v59, v69, 0x3dbcf732, v57
	v_fmamk_f32 v52, v30, 0xbf2c7751, v49
	v_fmac_f32_e32 v49, 0x3f2c7751, v30
	v_add_f32_e32 v53, v53, v54
	v_fma_f32 v57, 0x3dbcf732, v69, -v57
	s_delay_alu instid0(VALU_DEP_4) | instskip(NEXT) | instid1(VALU_DEP_4)
	v_add_f32_e32 v52, v52, v56
	v_dual_mul_f32 v56, 0x3f6eb680, v37 :: v_dual_add_f32 v49, v49, v58
	v_mul_f32_e32 v37, 0xbf59a7d5, v37
	s_delay_alu instid0(VALU_DEP_2) | instskip(SKIP_1) | instid1(VALU_DEP_1)
	v_dual_add_f32 v57, v57, v62 :: v_dual_fmamk_f32 v58, v30, 0x3eb8f4ab, v56
	v_fmac_f32_e32 v56, 0xbeb8f4ab, v30
	v_dual_add_f32 v54, v56, v63 :: v_dual_fmamk_f32 v63, v30, 0x3f06c442, v37
	v_fmac_f32_e32 v37, 0xbf06c442, v30
	s_delay_alu instid0(VALU_DEP_2) | instskip(SKIP_2) | instid1(VALU_DEP_4)
	v_dual_add_f32 v38, v63, v38 :: v_dual_add_f32 v63, v24, v35
	v_sub_f32_e32 v24, v24, v35
	v_dual_add_f32 v56, v59, v65 :: v_dual_fmamk_f32 v59, v30, 0x3f7ee86f, v68
	v_add_f32_e32 v27, v37, v27
	s_delay_alu instid0(VALU_DEP_2) | instskip(NEXT) | instid1(VALU_DEP_1)
	v_dual_add_f32 v59, v59, v61 :: v_dual_fmac_f32 v68, 0xbf7ee86f, v30
	v_add_f32_e32 v62, v68, v64
	v_sub_f32_e32 v64, v25, v34
	s_delay_alu instid0(VALU_DEP_1) | instskip(NEXT) | instid1(VALU_DEP_1)
	v_dual_add_f32 v25, v25, v34 :: v_dual_mul_f32 v34, 0xbf7ee86f, v64
	v_mul_f32_e32 v30, 0x3dbcf732, v25
	v_mul_f32_e32 v37, 0xbe3c28d5, v64
	s_delay_alu instid0(VALU_DEP_3) | instskip(SKIP_1) | instid1(VALU_DEP_1)
	v_fmamk_f32 v35, v63, 0x3dbcf732, v34
	v_fma_f32 v34, 0x3dbcf732, v63, -v34
	v_dual_add_f32 v29, v35, v29 :: v_dual_add_f32 v34, v34, v42
	v_mul_f32_e32 v42, 0xbe8c1d8e, v25
	v_add_f32_e32 v58, v58, v60
	v_mul_f32_e32 v60, 0xbf06c442, v66
	v_fmamk_f32 v35, v63, 0xbf7ba420, v37
	v_fma_f32 v37, 0xbf7ba420, v63, -v37
	s_delay_alu instid0(VALU_DEP_3) | instskip(SKIP_1) | instid1(VALU_DEP_3)
	v_fmamk_f32 v61, v69, 0xbf59a7d5, v60
	v_fma_f32 v60, 0xbf59a7d5, v69, -v60
	v_dual_add_f32 v32, v37, v32 :: v_dual_fmamk_f32 v37, v24, 0xbf763a35, v42
	s_delay_alu instid0(VALU_DEP_2) | instskip(SKIP_1) | instid1(VALU_DEP_3)
	v_dual_add_f32 v61, v61, v67 :: v_dual_add_f32 v26, v60, v26
	v_fmamk_f32 v60, v24, 0x3f7ee86f, v30
	v_dual_fmac_f32 v30, 0xbf7ee86f, v24 :: v_dual_add_f32 v37, v37, v46
	s_delay_alu instid0(VALU_DEP_2) | instskip(SKIP_1) | instid1(VALU_DEP_3)
	v_add_f32_e32 v28, v60, v28
	v_mul_f32_e32 v60, 0xbf7ba420, v25
	v_dual_add_f32 v30, v30, v31 :: v_dual_add_f32 v31, v35, v36
	v_mul_f32_e32 v35, 0x3f763a35, v64
	s_delay_alu instid0(VALU_DEP_3) | instskip(SKIP_1) | instid1(VALU_DEP_3)
	v_fmamk_f32 v36, v24, 0x3e3c28d5, v60
	v_fmac_f32_e32 v60, 0xbe3c28d5, v24
	v_fmamk_f32 v65, v63, 0xbe8c1d8e, v35
	v_fma_f32 v35, 0xbe8c1d8e, v63, -v35
	s_delay_alu instid0(VALU_DEP_4) | instskip(NEXT) | instid1(VALU_DEP_4)
	v_add_f32_e32 v36, v36, v40
	v_dual_add_f32 v33, v60, v33 :: v_dual_fmac_f32 v42, 0x3f763a35, v24
	s_delay_alu instid0(VALU_DEP_4) | instskip(NEXT) | instid1(VALU_DEP_4)
	v_dual_add_f32 v40, v65, v41 :: v_dual_mul_f32 v41, 0x3eb8f4ab, v64
	v_add_f32_e32 v35, v35, v43
	v_mul_f32_e32 v43, 0xbf65296c, v64
	s_delay_alu instid0(VALU_DEP_4) | instskip(SKIP_3) | instid1(VALU_DEP_2)
	v_add_f32_e32 v42, v42, v44
	v_mul_f32_e32 v46, 0x3f6eb680, v25
	v_fmamk_f32 v60, v63, 0x3f6eb680, v41
	v_fma_f32 v41, 0x3f6eb680, v63, -v41
	v_dual_add_f32 v45, v60, v45 :: v_dual_fmamk_f32 v60, v63, 0x3ee437d1, v43
	v_fma_f32 v43, 0x3ee437d1, v63, -v43
	s_delay_alu instid0(VALU_DEP_3) | instskip(NEXT) | instid1(VALU_DEP_2)
	v_add_f32_e32 v39, v41, v39
	v_dual_add_f32 v43, v43, v48 :: v_dual_fmamk_f32 v44, v24, 0xbeb8f4ab, v46
	v_fmac_f32_e32 v46, 0x3eb8f4ab, v24
	s_delay_alu instid0(VALU_DEP_2) | instskip(NEXT) | instid1(VALU_DEP_2)
	v_dual_add_f32 v44, v44, v47 :: v_dual_mul_f32 v47, 0x3ee437d1, v25
	v_dual_add_f32 v41, v46, v50 :: v_dual_add_f32 v46, v60, v51
	s_delay_alu instid0(VALU_DEP_2) | instskip(SKIP_2) | instid1(VALU_DEP_3)
	v_fmamk_f32 v51, v24, 0x3f65296c, v47
	v_fmac_f32_e32 v47, 0xbf65296c, v24
	v_mul_f32_e32 v50, 0xbf06c442, v64
	v_add_f32_e32 v51, v51, v52
	s_delay_alu instid0(VALU_DEP_3) | instskip(NEXT) | instid1(VALU_DEP_3)
	v_add_f32_e32 v47, v47, v49
	v_fmamk_f32 v65, v63, 0xbf59a7d5, v50
	v_fma_f32 v50, 0xbf59a7d5, v63, -v50
	s_delay_alu instid0(VALU_DEP_2) | instskip(NEXT) | instid1(VALU_DEP_2)
	v_dual_mul_f32 v52, 0x3f4c4adb, v64 :: v_dual_add_f32 v49, v65, v55
	v_add_f32_e32 v50, v50, v53
	v_mul_f32_e32 v60, 0xbf59a7d5, v25
	v_mul_f32_e32 v55, 0xbf1a4643, v25
	;; [unrolled: 1-line block ×3, first 2 shown]
	s_delay_alu instid0(VALU_DEP_3) | instskip(SKIP_1) | instid1(VALU_DEP_2)
	v_fmamk_f32 v48, v24, 0x3f06c442, v60
	v_fmac_f32_e32 v60, 0xbf06c442, v24
	v_add_f32_e32 v48, v48, v58
	v_fmamk_f32 v58, v63, 0xbf1a4643, v52
	v_fma_f32 v52, 0xbf1a4643, v63, -v52
	s_delay_alu instid0(VALU_DEP_4) | instskip(NEXT) | instid1(VALU_DEP_3)
	v_dual_add_f32 v53, v60, v54 :: v_dual_mul_f32 v54, 0x3f2c7751, v64
	v_add_f32_e32 v56, v58, v56
	s_delay_alu instid0(VALU_DEP_3) | instskip(SKIP_2) | instid1(VALU_DEP_2)
	v_add_f32_e32 v52, v52, v57
	v_fmamk_f32 v60, v24, 0xbf4c4adb, v55
	v_fmac_f32_e32 v55, 0x3f4c4adb, v24
	v_add_f32_e32 v59, v60, v59
	v_fmamk_f32 v60, v24, 0xbf2c7751, v25
	v_fmac_f32_e32 v25, 0x3f2c7751, v24
	s_delay_alu instid0(VALU_DEP_4) | instskip(NEXT) | instid1(VALU_DEP_3)
	v_add_f32_e32 v55, v55, v62
	v_add_f32_e32 v24, v60, v38
	v_fmamk_f32 v58, v63, 0x3f3d2fb0, v54
	v_fma_f32 v54, 0x3f3d2fb0, v63, -v54
	v_add_f32_e32 v25, v25, v27
	s_delay_alu instid0(VALU_DEP_3)
	v_dual_add_f32 v57, v58, v61 :: v_dual_sub_f32 v58, v21, v23
	v_add_f32_e32 v21, v21, v23
	v_add_f32_e32 v23, v20, v22
	v_sub_f32_e32 v20, v20, v22
	v_add_f32_e32 v26, v54, v26
	v_mul_f32_e32 v61, 0xbf763a35, v58
	v_mul_f32_e32 v22, 0xbe8c1d8e, v21
	;; [unrolled: 1-line block ×4, first 2 shown]
	s_delay_alu instid0(VALU_DEP_4) | instskip(NEXT) | instid1(VALU_DEP_4)
	v_fmamk_f32 v38, v23, 0xbe8c1d8e, v61
	v_fmamk_f32 v27, v20, 0x3f763a35, v22
	s_delay_alu instid0(VALU_DEP_2) | instskip(SKIP_1) | instid1(VALU_DEP_3)
	v_add_f32_e32 v29, v38, v29
	v_fma_f32 v38, 0xbe8c1d8e, v23, -v61
	v_add_f32_e32 v27, v27, v28
	v_fmamk_f32 v28, v23, 0xbf59a7d5, v54
	s_delay_alu instid0(VALU_DEP_3) | instskip(SKIP_1) | instid1(VALU_DEP_3)
	v_dual_mul_f32 v61, 0x3f3d2fb0, v21 :: v_dual_add_f32 v34, v38, v34
	v_fma_f32 v38, 0xbf59a7d5, v23, -v54
	v_add_f32_e32 v28, v28, v31
	v_fmamk_f32 v31, v20, 0xbf06c442, v60
	v_fmac_f32_e32 v60, 0x3f06c442, v20
	s_delay_alu instid0(VALU_DEP_4) | instskip(NEXT) | instid1(VALU_DEP_3)
	v_add_f32_e32 v32, v38, v32
	v_dual_fmamk_f32 v38, v20, 0xbf2c7751, v61 :: v_dual_add_f32 v31, v31, v36
	s_delay_alu instid0(VALU_DEP_3) | instskip(SKIP_1) | instid1(VALU_DEP_3)
	v_dual_add_f32 v33, v60, v33 :: v_dual_fmac_f32 v22, 0xbf763a35, v20
	v_fmac_f32_e32 v61, 0x3f2c7751, v20
	v_dual_add_f32 v37, v38, v37 :: v_dual_mul_f32 v60, 0xbe3c28d5, v58
	s_delay_alu instid0(VALU_DEP_3) | instskip(SKIP_1) | instid1(VALU_DEP_1)
	v_add_f32_e32 v22, v22, v30
	v_mul_f32_e32 v30, 0x3f2c7751, v58
	v_fmamk_f32 v54, v23, 0x3f3d2fb0, v30
	v_fma_f32 v30, 0x3f3d2fb0, v23, -v30
	s_delay_alu instid0(VALU_DEP_2) | instskip(SKIP_2) | instid1(VALU_DEP_4)
	v_add_f32_e32 v36, v54, v40
	v_mul_f32_e32 v40, 0xbf65296c, v58
	v_mul_f32_e32 v54, 0x3ee437d1, v21
	v_add_f32_e32 v30, v30, v35
	s_delay_alu instid0(VALU_DEP_3) | instskip(SKIP_1) | instid1(VALU_DEP_2)
	v_fmamk_f32 v38, v23, 0x3ee437d1, v40
	v_fma_f32 v40, 0x3ee437d1, v23, -v40
	v_add_f32_e32 v38, v38, v45
	v_mul_f32_e32 v45, 0xbf7ba420, v21
	v_dual_add_f32 v35, v61, v42 :: v_dual_fmamk_f32 v42, v20, 0x3f65296c, v54
	s_delay_alu instid0(VALU_DEP_4) | instskip(NEXT) | instid1(VALU_DEP_2)
	v_dual_fmac_f32 v54, 0xbf65296c, v20 :: v_dual_add_f32 v39, v40, v39
	v_dual_mul_f32 v61, 0x3dbcf732, v21 :: v_dual_add_f32 v42, v42, v44
	v_fmamk_f32 v44, v23, 0xbf7ba420, v60
	s_delay_alu instid0(VALU_DEP_3) | instskip(SKIP_1) | instid1(VALU_DEP_3)
	v_dual_add_f32 v40, v54, v41 :: v_dual_mul_f32 v41, 0x3f7ee86f, v58
	v_fma_f32 v54, 0xbf7ba420, v23, -v60
	v_add_f32_e32 v44, v44, v46
	v_fmamk_f32 v46, v20, 0x3e3c28d5, v45
	v_fmac_f32_e32 v45, 0xbe3c28d5, v20
	s_delay_alu instid0(VALU_DEP_4) | instskip(SKIP_1) | instid1(VALU_DEP_4)
	v_dual_fmamk_f32 v60, v23, 0x3dbcf732, v41 :: v_dual_add_f32 v43, v54, v43
	v_fma_f32 v41, 0x3dbcf732, v23, -v41
	v_add_f32_e32 v46, v46, v51
	s_delay_alu instid0(VALU_DEP_4) | instskip(NEXT) | instid1(VALU_DEP_4)
	v_add_f32_e32 v45, v45, v47
	v_add_f32_e32 v47, v60, v49
	v_fmamk_f32 v49, v20, 0xbf7ee86f, v61
	v_fmac_f32_e32 v61, 0x3f7ee86f, v20
	v_mul_f32_e32 v51, 0xbeb8f4ab, v58
	v_mul_f32_e32 v54, 0x3f6eb680, v21
	;; [unrolled: 1-line block ×3, first 2 shown]
	v_add_f32_e32 v48, v49, v48
	v_add_f32_e32 v41, v41, v50
	v_fmamk_f32 v49, v23, 0x3f6eb680, v51
	v_fmamk_f32 v50, v20, 0x3eb8f4ab, v54
	v_fma_f32 v51, 0x3f6eb680, v23, -v51
	v_fmac_f32_e32 v54, 0xbeb8f4ab, v20
	v_mul_f32_e32 v21, 0xbf1a4643, v21
	v_dual_add_f32 v49, v49, v56 :: v_dual_fmamk_f32 v56, v23, 0xbf1a4643, v58
	s_delay_alu instid0(VALU_DEP_3) | instskip(SKIP_1) | instid1(VALU_DEP_3)
	v_dual_add_f32 v51, v51, v52 :: v_dual_add_f32 v54, v54, v55
	v_add_f32_e32 v53, v61, v53
	v_add_f32_e32 v55, v56, v57
	;; [unrolled: 1-line block ×3, first 2 shown]
	v_sub_f32_e32 v16, v16, v18
	v_sub_f32_e32 v52, v17, v19
	v_add_f32_e32 v17, v17, v19
	v_add_f32_e32 v50, v50, v59
	v_fmamk_f32 v56, v20, 0x3f4c4adb, v21
	v_fma_f32 v19, 0xbf1a4643, v23, -v58
	v_mul_f32_e32 v59, 0xbf4c4adb, v52
	v_fmac_f32_e32 v21, 0xbf4c4adb, v20
	s_delay_alu instid0(VALU_DEP_4) | instskip(NEXT) | instid1(VALU_DEP_3)
	v_dual_mul_f32 v20, 0xbf1a4643, v17 :: v_dual_add_f32 v23, v56, v24
	v_dual_add_f32 v19, v19, v26 :: v_dual_fmamk_f32 v18, v57, 0xbf1a4643, v59
	s_delay_alu instid0(VALU_DEP_2) | instskip(SKIP_2) | instid1(VALU_DEP_4)
	v_dual_add_f32 v21, v21, v25 :: v_dual_fmamk_f32 v24, v16, 0x3f4c4adb, v20
	v_mul_f32_e32 v25, 0x3f763a35, v52
	v_fma_f32 v26, 0xbf1a4643, v57, -v59
	v_add_f32_e32 v18, v18, v29
	v_fmac_f32_e32 v20, 0xbf4c4adb, v16
	v_dual_mul_f32 v29, 0xbe8c1d8e, v17 :: v_dual_add_f32 v24, v24, v27
	s_delay_alu instid0(VALU_DEP_4) | instskip(NEXT) | instid1(VALU_DEP_3)
	v_dual_fmamk_f32 v27, v57, 0xbe8c1d8e, v25 :: v_dual_add_f32 v26, v26, v34
	v_add_f32_e32 v20, v20, v22
	s_delay_alu instid0(VALU_DEP_3) | instskip(SKIP_3) | instid1(VALU_DEP_4)
	v_fmamk_f32 v22, v16, 0xbf763a35, v29
	v_mul_f32_e32 v34, 0xbeb8f4ab, v52
	v_fma_f32 v25, 0xbe8c1d8e, v57, -v25
	v_add_f32_e32 v27, v27, v28
	v_dual_fmac_f32 v29, 0x3f763a35, v16 :: v_dual_add_f32 v22, v22, v31
	s_delay_alu instid0(VALU_DEP_4) | instskip(NEXT) | instid1(VALU_DEP_4)
	v_dual_fmamk_f32 v28, v57, 0x3f6eb680, v34 :: v_dual_mul_f32 v31, 0x3f6eb680, v17
	v_add_f32_e32 v25, v25, v32
	s_delay_alu instid0(VALU_DEP_3) | instskip(SKIP_1) | instid1(VALU_DEP_4)
	v_dual_mul_f32 v32, 0xbf06c442, v52 :: v_dual_add_f32 v29, v29, v33
	v_fma_f32 v34, 0x3f6eb680, v57, -v34
	v_fmamk_f32 v33, v16, 0x3eb8f4ab, v31
	v_add_f32_e32 v28, v28, v36
	s_delay_alu instid0(VALU_DEP_4) | instskip(SKIP_2) | instid1(VALU_DEP_3)
	v_fmamk_f32 v36, v57, 0xbf59a7d5, v32
	v_fma_f32 v32, 0xbf59a7d5, v57, -v32
	v_dual_fmac_f32 v31, 0xbeb8f4ab, v16 :: v_dual_add_f32 v30, v34, v30
	v_dual_add_f32 v33, v33, v37 :: v_dual_add_f32 v34, v36, v38
	s_delay_alu instid0(VALU_DEP_3) | instskip(NEXT) | instid1(VALU_DEP_3)
	v_add_f32_e32 v32, v32, v39
	v_dual_mul_f32 v56, 0xbf59a7d5, v17 :: v_dual_add_f32 v31, v31, v35
	v_mul_f32_e32 v36, 0x3f7ee86f, v52
	v_mul_f32_e32 v37, 0x3dbcf732, v17
	s_delay_alu instid0(VALU_DEP_3) | instskip(SKIP_1) | instid1(VALU_DEP_4)
	v_fmamk_f32 v35, v16, 0x3f06c442, v56
	v_fmac_f32_e32 v56, 0xbf06c442, v16
	v_fmamk_f32 v38, v57, 0x3dbcf732, v36
	v_fma_f32 v36, 0x3dbcf732, v57, -v36
	s_delay_alu instid0(VALU_DEP_4) | instskip(NEXT) | instid1(VALU_DEP_3)
	v_dual_add_f32 v35, v35, v42 :: v_dual_mul_f32 v42, 0xbf2c7751, v52
	v_add_f32_e32 v38, v38, v44
	v_add_f32_e32 v39, v56, v40
	s_delay_alu instid0(VALU_DEP_4) | instskip(NEXT) | instid1(VALU_DEP_4)
	v_dual_add_f32 v36, v36, v43 :: v_dual_mul_f32 v43, 0xbe3c28d5, v52
	v_fmamk_f32 v44, v57, 0x3f3d2fb0, v42
	v_fma_f32 v42, 0x3f3d2fb0, v57, -v42
	v_mul_f32_e32 v56, 0xbf7ba420, v17
	s_delay_alu instid0(VALU_DEP_3)
	v_add_f32_e32 v44, v44, v47
	v_fmamk_f32 v40, v16, 0xbf7ee86f, v37
	v_fmac_f32_e32 v37, 0x3f7ee86f, v16
	v_fmamk_f32 v47, v57, 0xbf7ba420, v43
	v_add_f32_e32 v41, v42, v41
	v_fma_f32 v43, 0xbf7ba420, v57, -v43
	v_add_f32_e32 v40, v40, v46
	v_mul_f32_e32 v46, 0x3f3d2fb0, v17
	v_add_f32_e32 v37, v37, v45
	v_mul_f32_e32 v17, 0x3ee437d1, v17
	v_add_f32_e32 v43, v43, v51
	s_delay_alu instid0(VALU_DEP_4) | instskip(SKIP_1) | instid1(VALU_DEP_1)
	v_fmamk_f32 v45, v16, 0x3f2c7751, v46
	v_fmac_f32_e32 v46, 0xbf2c7751, v16
	v_dual_add_f32 v45, v45, v48 :: v_dual_add_f32 v42, v46, v53
	v_dual_add_f32 v46, v47, v49 :: v_dual_fmamk_f32 v47, v16, 0x3e3c28d5, v56
	s_delay_alu instid0(VALU_DEP_1)
	v_dual_add_f32 v47, v47, v50 :: v_dual_fmamk_f32 v50, v16, 0xbf65296c, v17
	v_fmac_f32_e32 v17, 0x3f65296c, v16
	v_mul_f32_e32 v48, 0x3f65296c, v52
	v_sub_f32_e32 v52, v13, v15
	v_add_f32_e32 v13, v13, v15
	v_dual_add_f32 v23, v50, v23 :: v_dual_add_f32 v50, v12, v14
	s_delay_alu instid0(VALU_DEP_4) | instskip(NEXT) | instid1(VALU_DEP_4)
	v_fmamk_f32 v49, v57, 0x3ee437d1, v48
	v_mul_f32_e32 v15, 0xbf06c442, v52
	v_fmac_f32_e32 v56, 0xbe3c28d5, v16
	v_fma_f32 v48, 0x3ee437d1, v57, -v48
	v_sub_f32_e32 v12, v12, v14
	v_mul_f32_e32 v14, 0xbf59a7d5, v13
	v_dual_fmamk_f32 v16, v50, 0xbf59a7d5, v15 :: v_dual_add_f32 v17, v17, v21
	v_mul_f32_e32 v21, 0x3f65296c, v52
	v_add_f32_e32 v19, v48, v19
	s_delay_alu instid0(VALU_DEP_4) | instskip(NEXT) | instid1(VALU_DEP_4)
	v_fmamk_f32 v48, v12, 0x3f06c442, v14
	v_add_f32_e32 v16, v16, v18
	v_fma_f32 v15, 0xbf59a7d5, v50, -v15
	v_fmamk_f32 v18, v50, 0x3ee437d1, v21
	v_fmac_f32_e32 v14, 0xbf06c442, v12
	v_fma_f32 v21, 0x3ee437d1, v50, -v21
	v_add_f32_e32 v51, v56, v54
	s_delay_alu instid0(VALU_DEP_4) | instskip(SKIP_3) | instid1(VALU_DEP_2)
	v_dual_add_f32 v15, v15, v26 :: v_dual_add_f32 v18, v18, v27
	v_dual_mul_f32 v27, 0x3dbcf732, v13 :: v_dual_add_f32 v24, v48, v24
	v_mul_f32_e32 v48, 0x3ee437d1, v13
	v_add_f32_e32 v21, v21, v25
	v_dual_add_f32 v49, v49, v55 :: v_dual_fmamk_f32 v26, v12, 0xbf65296c, v48
	v_fmac_f32_e32 v48, 0x3f65296c, v12
	s_delay_alu instid0(VALU_DEP_2) | instskip(SKIP_2) | instid1(VALU_DEP_4)
	v_add_f32_e32 v22, v26, v22
	v_fmamk_f32 v26, v12, 0x3f7ee86f, v27
	v_fmac_f32_e32 v27, 0xbf7ee86f, v12
	v_add_f32_e32 v25, v48, v29
	s_delay_alu instid0(VALU_DEP_3) | instskip(SKIP_1) | instid1(VALU_DEP_4)
	v_dual_mul_f32 v29, 0x3f4c4adb, v52 :: v_dual_add_f32 v26, v26, v33
	v_dual_mul_f32 v33, 0xbf1a4643, v13 :: v_dual_add_f32 v14, v14, v20
	;; [unrolled: 1-line block ×3, first 2 shown]
	s_delay_alu instid0(VALU_DEP_3) | instskip(NEXT) | instid1(VALU_DEP_3)
	v_fmamk_f32 v48, v50, 0xbf1a4643, v29
	v_fmamk_f32 v31, v12, 0xbf4c4adb, v33
	v_fma_f32 v29, 0xbf1a4643, v50, -v29
	s_delay_alu instid0(VALU_DEP_4)
	v_fmamk_f32 v53, v50, 0x3dbcf732, v20
	v_fma_f32 v20, 0x3dbcf732, v50, -v20
	v_fmac_f32_e32 v33, 0x3f4c4adb, v12
	v_add_f32_e32 v31, v31, v35
	v_mul_f32_e32 v35, 0x3f6eb680, v13
	v_add_f32_e32 v29, v29, v32
	v_add_f32_e32 v28, v53, v28
	s_delay_alu instid0(VALU_DEP_3) | instskip(SKIP_3) | instid1(VALU_DEP_2)
	v_dual_add_f32 v32, v33, v39 :: v_dual_fmamk_f32 v39, v12, 0x3eb8f4ab, v35
	v_add_f32_e32 v20, v20, v30
	v_mul_f32_e32 v30, 0xbeb8f4ab, v52
	v_dual_fmac_f32 v35, 0xbeb8f4ab, v12 :: v_dual_add_f32 v34, v48, v34
	v_fmamk_f32 v48, v50, 0x3f6eb680, v30
	v_fma_f32 v30, 0x3f6eb680, v50, -v30
	s_delay_alu instid0(VALU_DEP_3) | instskip(NEXT) | instid1(VALU_DEP_3)
	v_add_f32_e32 v35, v35, v37
	v_dual_add_f32 v33, v48, v38 :: v_dual_mul_f32 v38, 0xbe3c28d5, v52
	v_mul_f32_e32 v48, 0xbf7ba420, v13
	s_delay_alu instid0(VALU_DEP_4) | instskip(NEXT) | instid1(VALU_DEP_3)
	v_add_f32_e32 v30, v30, v36
	v_fmamk_f32 v53, v50, 0xbf7ba420, v38
	s_delay_alu instid0(VALU_DEP_3) | instskip(SKIP_2) | instid1(VALU_DEP_4)
	v_fmamk_f32 v36, v12, 0x3e3c28d5, v48
	v_fma_f32 v38, 0xbf7ba420, v50, -v38
	v_fmac_f32_e32 v48, 0xbe3c28d5, v12
	v_dual_add_f32 v37, v53, v44 :: v_dual_mul_f32 v44, 0x3f3d2fb0, v13
	s_delay_alu instid0(VALU_DEP_2) | instskip(SKIP_2) | instid1(VALU_DEP_4)
	v_dual_add_f32 v38, v38, v41 :: v_dual_add_f32 v41, v48, v42
	v_mul_f32_e32 v13, 0xbe8c1d8e, v13
	v_add_f32_e32 v36, v36, v45
	v_fmamk_f32 v48, v12, 0xbf2c7751, v44
	v_mul_f32_e32 v42, 0xbf763a35, v52
	s_delay_alu instid0(VALU_DEP_2) | instskip(SKIP_4) | instid1(VALU_DEP_4)
	v_dual_fmac_f32 v44, 0x3f2c7751, v12 :: v_dual_add_f32 v47, v48, v47
	v_fmamk_f32 v48, v12, 0x3f763a35, v13
	v_fmac_f32_e32 v13, 0xbf763a35, v12
	v_add_f32_e32 v39, v39, v40
	v_mul_f32_e32 v40, 0x3f2c7751, v52
	v_add_f32_e32 v48, v48, v23
	s_delay_alu instid0(VALU_DEP_2) | instskip(SKIP_1) | instid1(VALU_DEP_2)
	v_dual_add_f32 v52, v13, v17 :: v_dual_fmamk_f32 v45, v50, 0x3f3d2fb0, v40
	v_fma_f32 v40, 0x3f3d2fb0, v50, -v40
	v_dual_add_f32 v45, v45, v46 :: v_dual_fmamk_f32 v46, v50, 0xbe8c1d8e, v42
	s_delay_alu instid0(VALU_DEP_2)
	v_add_f32_e32 v40, v40, v43
	v_add_f32_e32 v43, v44, v51
	v_fma_f32 v42, 0xbe8c1d8e, v50, -v42
	v_add_f32_e32 v50, v8, v9
	v_add_f32_e32 v44, v46, v49
	v_sub_f32_e32 v46, v10, v11
	v_add_f32_e32 v49, v10, v11
	v_dual_sub_f32 v51, v8, v9 :: v_dual_add_f32 v42, v42, v19
	s_delay_alu instid0(VALU_DEP_3) | instskip(NEXT) | instid1(VALU_DEP_3)
	v_mul_f32_e32 v10, 0xbe3c28d5, v46
	v_mul_f32_e32 v11, 0xbf7ba420, v49
	;; [unrolled: 1-line block ×5, first 2 shown]
	v_fmamk_f32 v8, v50, 0xbf7ba420, v10
	v_fmamk_f32 v9, v51, 0x3e3c28d5, v11
	v_fma_f32 v10, 0xbf7ba420, v50, -v10
	v_fmac_f32_e32 v11, 0xbe3c28d5, v51
	v_fmamk_f32 v12, v50, 0x3f6eb680, v13
	v_add_f32_e32 v8, v8, v16
	v_mul_f32_e32 v16, 0x3f6eb680, v49
	s_delay_alu instid0(VALU_DEP_4) | instskip(SKIP_2) | instid1(VALU_DEP_4)
	v_dual_add_f32 v10, v10, v15 :: v_dual_add_f32 v11, v11, v14
	v_fma_f32 v15, 0x3f6eb680, v50, -v13
	v_add_f32_e32 v12, v12, v18
	v_fmamk_f32 v14, v51, 0xbeb8f4ab, v16
	v_fmac_f32_e32 v16, 0x3eb8f4ab, v51
	v_dual_fmamk_f32 v18, v50, 0xbf59a7d5, v17 :: v_dual_mul_f32 v19, 0xbf59a7d5, v49
	s_delay_alu instid0(VALU_DEP_3) | instskip(SKIP_2) | instid1(VALU_DEP_4)
	v_dual_add_f32 v13, v14, v22 :: v_dual_add_f32 v14, v15, v21
	v_mul_f32_e32 v21, 0x3f2c7751, v46
	v_add_f32_e32 v9, v9, v24
	v_dual_add_f32 v15, v16, v25 :: v_dual_add_f32 v16, v18, v28
	v_fmamk_f32 v18, v51, 0x3f06c442, v19
	v_fma_f32 v22, 0xbf59a7d5, v50, -v17
	v_fmamk_f32 v24, v50, 0x3f3d2fb0, v21
	v_fmac_f32_e32 v19, 0xbf06c442, v51
	v_mul_f32_e32 v25, 0xbf4c4adb, v46
	v_add_f32_e32 v17, v18, v26
	v_add_f32_e32 v18, v22, v20
	v_fmamk_f32 v22, v51, 0xbf2c7751, v23
	v_add_f32_e32 v20, v24, v34
	v_fma_f32 v24, 0x3f3d2fb0, v50, -v21
	v_add_f32_e32 v19, v19, v27
	v_fmac_f32_e32 v23, 0x3f2c7751, v51
	v_add_f32_e32 v21, v22, v31
	v_dual_fmamk_f32 v26, v50, 0xbf1a4643, v25 :: v_dual_mul_f32 v27, 0xbf1a4643, v49
	v_dual_add_f32 v22, v24, v29 :: v_dual_mul_f32 v29, 0x3f65296c, v46
	s_delay_alu instid0(VALU_DEP_2) | instskip(NEXT) | instid1(VALU_DEP_3)
	v_dual_add_f32 v23, v23, v32 :: v_dual_add_f32 v24, v26, v33
	v_fmamk_f32 v26, v51, 0x3f4c4adb, v27
	v_fma_f32 v28, 0xbf1a4643, v50, -v25
	v_fmac_f32_e32 v27, 0xbf4c4adb, v51
	v_dual_fmamk_f32 v31, v50, 0x3ee437d1, v29 :: v_dual_mul_f32 v32, 0x3ee437d1, v49
	s_delay_alu instid0(VALU_DEP_3) | instskip(NEXT) | instid1(VALU_DEP_3)
	v_dual_add_f32 v25, v26, v39 :: v_dual_add_f32 v26, v28, v30
	v_add_f32_e32 v27, v27, v35
	s_delay_alu instid0(VALU_DEP_3) | instskip(NEXT) | instid1(VALU_DEP_4)
	v_add_f32_e32 v28, v31, v37
	v_fmamk_f32 v30, v51, 0xbf65296c, v32
	v_mul_f32_e32 v33, 0xbf763a35, v46
	v_fma_f32 v31, 0x3ee437d1, v50, -v29
	v_mul_f32_e32 v35, 0xbe8c1d8e, v49
	s_delay_alu instid0(VALU_DEP_4) | instskip(NEXT) | instid1(VALU_DEP_4)
	v_dual_fmac_f32 v32, 0x3f65296c, v51 :: v_dual_add_f32 v29, v30, v36
	v_fmamk_f32 v34, v50, 0xbe8c1d8e, v33
	s_delay_alu instid0(VALU_DEP_4) | instskip(NEXT) | instid1(VALU_DEP_4)
	v_add_f32_e32 v30, v31, v38
	v_fmamk_f32 v36, v51, 0x3f763a35, v35
	v_fma_f32 v37, 0xbe8c1d8e, v50, -v33
	v_mul_f32_e32 v38, 0x3f7ee86f, v46
	v_mul_f32_e32 v39, 0x3dbcf732, v49
	v_add_f32_e32 v31, v32, v41
	v_dual_add_f32 v32, v34, v45 :: v_dual_add_f32 v33, v36, v47
	v_add_f32_e32 v34, v37, v40
	v_fmamk_f32 v36, v50, 0x3dbcf732, v38
	v_fmamk_f32 v37, v51, 0xbf7ee86f, v39
	v_fma_f32 v38, 0x3dbcf732, v50, -v38
	v_fmac_f32_e32 v39, 0x3f7ee86f, v51
	s_delay_alu instid0(VALU_DEP_4) | instskip(NEXT) | instid1(VALU_DEP_3)
	v_dual_fmac_f32 v35, 0xbf763a35, v51 :: v_dual_add_f32 v36, v36, v44
	v_dual_add_f32 v37, v37, v48 :: v_dual_add_f32 v38, v38, v42
	s_delay_alu instid0(VALU_DEP_3) | instskip(NEXT) | instid1(VALU_DEP_3)
	v_add_f32_e32 v39, v39, v52
	v_add_f32_e32 v35, v35, v43
	ds_store_2addr_b64 v139, v[0:1], v[8:9] offset1:85
	ds_store_2addr_b64 v139, v[12:13], v[16:17] offset0:170 offset1:255
	ds_store_2addr_b64 v7, v[20:21], v[24:25] offset0:84 offset1:169
	;; [unrolled: 1-line block ×7, first 2 shown]
	ds_store_b64 v139, v[10:11] offset:10880
	global_wb scope:SCOPE_SE
	s_wait_dscnt 0x0
	s_barrier_signal -1
	s_barrier_wait -1
	global_inv scope:SCOPE_SE
	ds_load_2addr_b64 v[8:11], v139 offset1:85
	s_wait_dscnt 0x0
	v_mul_f32_e32 v0, v124, v9
	v_dual_mul_f32 v1, v124, v8 :: v_dual_mul_f32 v12, v126, v11
	s_delay_alu instid0(VALU_DEP_2) | instskip(NEXT) | instid1(VALU_DEP_2)
	v_fmac_f32_e32 v0, v123, v8
	v_fma_f32 v8, v123, v9, -v1
	v_mul_f32_e32 v9, v126, v10
	s_delay_alu instid0(VALU_DEP_4) | instskip(NEXT) | instid1(VALU_DEP_4)
	v_fmac_f32_e32 v12, v125, v10
	v_cvt_f64_f32_e32 v[0:1], v0
	s_delay_alu instid0(VALU_DEP_4) | instskip(NEXT) | instid1(VALU_DEP_4)
	v_cvt_f64_f32_e32 v[16:17], v8
	v_fma_f32 v8, v125, v11, -v9
	s_delay_alu instid0(VALU_DEP_4) | instskip(NEXT) | instid1(VALU_DEP_2)
	v_cvt_f64_f32_e32 v[18:19], v12
	v_cvt_f64_f32_e32 v[20:21], v8
	ds_load_2addr_b64 v[8:11], v139 offset0:170 offset1:255
	ds_load_2addr_b64 v[12:15], v7 offset0:84 offset1:169
	s_clause 0x1
	scratch_load_b64 v[30:31], off, off offset:32 th:TH_LOAD_LU
	scratch_load_b32 v35, off, off offset:40 th:TH_LOAD_LU
	s_wait_dscnt 0x1
	v_mul_f32_e32 v22, v118, v9
	v_mul_f32_e32 v7, v118, v8
	;; [unrolled: 1-line block ×3, first 2 shown]
	s_wait_dscnt 0x0
	v_dual_mul_f32 v25, v122, v10 :: v_dual_mul_f32 v26, v116, v13
	v_fmac_f32_e32 v22, v117, v8
	v_fma_f32 v24, v117, v9, -v7
	v_fmac_f32_e32 v23, v121, v10
	s_delay_alu instid0(VALU_DEP_4)
	v_fma_f32 v11, v121, v11, -v25
	v_fmac_f32_e32 v26, v115, v12
	v_cvt_f64_f32_e32 v[9:10], v22
	s_wait_alu 0xfffe
	v_mul_f64_e32 v[0:1], s[2:3], v[0:1]
	v_mul_f64_e32 v[16:17], s[2:3], v[16:17]
	v_mul_f32_e32 v28, v120, v15
	v_mul_f64_e32 v[18:19], s[2:3], v[18:19]
	v_mul_f32_e32 v29, v120, v14
	v_mul_f32_e32 v27, v116, v12
	v_cvt_f64_f32_e32 v[22:23], v23
	v_mul_f64_e32 v[7:8], s[2:3], v[20:21]
	v_cvt_f64_f32_e32 v[20:21], v24
	v_cvt_f64_f32_e32 v[24:25], v11
	;; [unrolled: 1-line block ×3, first 2 shown]
	v_fmac_f32_e32 v28, v119, v14
	v_fma_f32 v15, v119, v15, -v29
	v_fma_f32 v13, v115, v13, -v27
	s_delay_alu instid0(VALU_DEP_3) | instskip(NEXT) | instid1(VALU_DEP_3)
	v_cvt_f64_f32_e32 v[26:27], v28
	v_cvt_f64_f32_e32 v[28:29], v15
	s_delay_alu instid0(VALU_DEP_3)
	v_cvt_f64_f32_e32 v[13:14], v13
	v_cvt_f32_f64_e32 v0, v[0:1]
	v_cvt_f32_f64_e32 v1, v[16:17]
	v_mul_f64_e32 v[22:23], s[2:3], v[22:23]
	v_cvt_f32_f64_e32 v17, v[7:8]
	v_mul_f64_e32 v[20:21], s[2:3], v[20:21]
	v_mul_f64_e32 v[24:25], s[2:3], v[24:25]
	;; [unrolled: 1-line block ×4, first 2 shown]
	s_wait_loadcnt 0x1
	v_mov_b32_e32 v34, v30
	s_wait_loadcnt 0x0
	v_mad_co_u64_u32 v[32:33], null, s4, v35, 0
	s_delay_alu instid0(VALU_DEP_2) | instskip(NEXT) | instid1(VALU_DEP_1)
	v_mad_co_u64_u32 v[30:31], null, s6, v34, 0
	v_mov_b32_e32 v15, v31
	s_delay_alu instid0(VALU_DEP_3) | instskip(NEXT) | instid1(VALU_DEP_2)
	v_mov_b32_e32 v31, v33
	v_mad_co_u64_u32 v[33:34], null, s7, v34, v[15:16]
	s_delay_alu instid0(VALU_DEP_2) | instskip(SKIP_2) | instid1(VALU_DEP_4)
	v_mad_co_u64_u32 v[15:16], null, s5, v35, v[31:32]
	v_cvt_f32_f64_e32 v16, v[18:19]
	v_mul_f64_e32 v[18:19], s[2:3], v[9:10]
	v_mov_b32_e32 v31, v33
	s_delay_alu instid0(VALU_DEP_4) | instskip(SKIP_1) | instid1(VALU_DEP_3)
	v_mov_b32_e32 v33, v15
	v_mul_f64_e32 v[14:15], s[2:3], v[13:14]
	v_lshlrev_b64_e32 v[7:8], 3, v[30:31]
	v_mul_f64_e32 v[30:31], s[2:3], v[11:12]
	s_delay_alu instid0(VALU_DEP_4) | instskip(NEXT) | instid1(VALU_DEP_3)
	v_lshlrev_b64_e32 v[9:10], 3, v[32:33]
	v_add_co_u32 v7, vcc_lo, s0, v7
	s_wait_alu 0xfffd
	s_delay_alu instid0(VALU_DEP_4) | instskip(SKIP_1) | instid1(VALU_DEP_2)
	v_add_co_ci_u32_e32 v8, vcc_lo, s1, v8, vcc_lo
	s_mul_u64 s[0:1], s[4:5], 0x2a8
	v_add_co_u32 v11, vcc_lo, v7, v9
	s_wait_alu 0xfffd
	s_delay_alu instid0(VALU_DEP_2)
	v_add_co_ci_u32_e32 v12, vcc_lo, v8, v10, vcc_lo
	ds_load_2addr_b64 v[6:9], v6 offset0:126 offset1:211
	s_wait_alu 0xfffe
	v_add_co_u32 v32, vcc_lo, v11, s0
	s_wait_alu 0xfffd
	v_add_co_ci_u32_e32 v33, vcc_lo, s1, v12, vcc_lo
	s_clause 0x1
	global_store_b64 v[11:12], v[0:1], off
	global_store_b64 v[32:33], v[16:17], off
	s_clause 0x1
	scratch_load_b64 v[49:50], off, off th:TH_LOAD_LU
	scratch_load_b64 v[54:55], off, off offset:8 th:TH_LOAD_LU
	ds_load_2addr_b64 v[10:13], v5 offset0:168 offset1:253
	v_cvt_f32_f64_e32 v17, v[20:21]
	v_cvt_f32_f64_e32 v20, v[22:23]
	scratch_load_b64 v[41:42], off, off offset:16 th:TH_LOAD_LU ; 8-byte Folded Reload
	s_wait_dscnt 0x1
	v_mul_f32_e32 v0, v114, v7
	v_mul_f32_e32 v1, v114, v6
	v_cvt_f32_f64_e32 v23, v[14:15]
	v_cvt_f32_f64_e32 v15, v[28:29]
	v_mul_f32_e32 v28, v108, v9
	v_fmac_f32_e32 v0, v113, v6
	v_fma_f32 v1, v113, v7, -v1
	v_cvt_f32_f64_e32 v21, v[24:25]
	v_cvt_f32_f64_e32 v14, v[26:27]
	v_fmac_f32_e32 v28, v107, v8
	v_cvt_f64_f32_e32 v[24:25], v0
	v_cvt_f64_f32_e32 v[26:27], v1
	v_mul_f32_e32 v0, v108, v8
	ds_load_2addr_b64 v[4:7], v4 offset0:82 offset1:167
	v_cvt_f32_f64_e32 v16, v[18:19]
	v_add_co_u32 v18, vcc_lo, v32, s0
	s_wait_dscnt 0x1
	v_mul_f32_e32 v1, v112, v11
	v_mul_f32_e32 v8, v112, v10
	v_fma_f32 v0, v107, v9, -v0
	s_wait_alu 0xfffd
	v_add_co_ci_u32_e32 v19, vcc_lo, s1, v33, vcc_lo
	v_fmac_f32_e32 v1, v111, v10
	v_fma_f32 v34, v111, v11, -v8
	ds_load_2addr_b64 v[8:11], v3 offset0:124 offset1:209
	v_cvt_f32_f64_e32 v22, v[30:31]
	v_cvt_f64_f32_e32 v[30:31], v0
	v_cvt_f64_f32_e32 v[32:33], v1
	ds_load_2addr_b64 v[0:3], v2 offset0:166 offset1:251
	v_cvt_f64_f32_e32 v[28:29], v28
	v_cvt_f64_f32_e32 v[34:35], v34
	s_wait_dscnt 0x2
	v_mul_f32_e32 v38, v101, v5
	v_dual_mul_f32 v39, v101, v4 :: v_dual_mul_f32 v40, v103, v7
	s_delay_alu instid0(VALU_DEP_2) | instskip(NEXT) | instid1(VALU_DEP_2)
	v_fmac_f32_e32 v38, v100, v4
	v_fma_f32 v39, v100, v5, -v39
	s_delay_alu instid0(VALU_DEP_3)
	v_fmac_f32_e32 v40, v102, v6
	v_mul_f64_e32 v[24:25], s[2:3], v[24:25]
	v_mul_f64_e32 v[26:27], s[2:3], v[26:27]
	;; [unrolled: 1-line block ×6, first 2 shown]
	v_cvt_f32_f64_e32 v24, v[24:25]
	v_cvt_f32_f64_e32 v25, v[26:27]
	;; [unrolled: 1-line block ×6, first 2 shown]
	s_wait_loadcnt_dscnt 0x201
	v_mul_f32_e32 v44, v50, v9
	v_mul_f32_e32 v45, v50, v8
	scratch_load_b64 v[50:51], off, off offset:24 th:TH_LOAD_LU ; 8-byte Folded Reload
	s_wait_loadcnt_dscnt 0x200
	v_mul_f32_e32 v48, v55, v1
	s_wait_loadcnt 0x1
	v_mul_f32_e32 v36, v42, v13
	v_fmac_f32_e32 v44, v49, v8
	v_fma_f32 v45, v49, v9, -v45
	v_fmac_f32_e32 v48, v54, v0
	v_mul_f32_e32 v0, v55, v0
	v_fmac_f32_e32 v36, v41, v12
	v_mul_f32_e32 v12, v42, v12
	v_cvt_f64_f32_e32 v[8:9], v44
	v_cvt_f64_f32_e32 v[48:49], v48
	v_fma_f32 v0, v54, v1, -v0
	v_cvt_f64_f32_e32 v[36:37], v36
	v_fma_f32 v12, v41, v13, -v12
	v_mul_f32_e32 v13, v103, v6
	v_add_co_u32 v54, vcc_lo, v18, s0
	v_cvt_f64_f32_e32 v[0:1], v0
	s_delay_alu instid0(VALU_DEP_4) | instskip(NEXT) | instid1(VALU_DEP_4)
	v_cvt_f64_f32_e32 v[4:5], v12
	v_fma_f32 v42, v102, v7, -v13
	v_cvt_f64_f32_e32 v[6:7], v38
	v_cvt_f64_f32_e32 v[12:13], v39
	;; [unrolled: 1-line block ×3, first 2 shown]
	ds_load_b64 v[40:41], v139 offset:10880
	v_cvt_f64_f32_e32 v[42:43], v42
	s_wait_alu 0xfffd
	v_add_co_ci_u32_e32 v55, vcc_lo, s1, v19, vcc_lo
	v_add_co_u32 v56, vcc_lo, v54, s0
	s_wait_alu 0xfffd
	s_delay_alu instid0(VALU_DEP_2) | instskip(NEXT) | instid1(VALU_DEP_2)
	v_add_co_ci_u32_e32 v57, vcc_lo, s1, v55, vcc_lo
	v_add_co_u32 v58, vcc_lo, v56, s0
	s_wait_alu 0xfffd
	s_delay_alu instid0(VALU_DEP_2)
	v_add_co_ci_u32_e32 v59, vcc_lo, s1, v57, vcc_lo
	s_clause 0x2
	global_store_b64 v[18:19], v[16:17], off
	global_store_b64 v[54:55], v[20:21], off
	;; [unrolled: 1-line block ×4, first 2 shown]
	v_add_co_u32 v26, vcc_lo, v58, s0
	s_wait_alu 0xfffd
	v_add_co_ci_u32_e32 v27, vcc_lo, s1, v59, vcc_lo
	s_wait_dscnt 0x0
	v_mul_f32_e32 v52, v110, v41
	v_mul_f32_e32 v53, v110, v40
	v_add_co_u32 v30, vcc_lo, v26, s0
	v_mul_f64_e32 v[8:9], s[2:3], v[8:9]
	s_delay_alu instid0(VALU_DEP_4) | instskip(NEXT) | instid1(VALU_DEP_4)
	v_fmac_f32_e32 v52, v109, v40
	v_fma_f32 v53, v109, v41, -v53
	v_mul_f64_e32 v[36:37], s[2:3], v[36:37]
	v_mul_f64_e32 v[22:23], s[2:3], v[48:49]
	s_wait_alu 0xfffd
	v_add_co_ci_u32_e32 v31, vcc_lo, s1, v27, vcc_lo
	v_add_co_u32 v34, vcc_lo, v30, s0
	v_mul_f64_e32 v[4:5], s[2:3], v[4:5]
	v_mul_f64_e32 v[0:1], s[2:3], v[0:1]
	;; [unrolled: 1-line block ×5, first 2 shown]
	s_wait_alu 0xfffd
	v_add_co_ci_u32_e32 v35, vcc_lo, s1, v31, vcc_lo
	v_mul_f64_e32 v[16:17], s[2:3], v[42:43]
	global_store_b64 v[26:27], v[24:25], off
	global_store_b64 v[30:31], v[28:29], off
	;; [unrolled: 1-line block ×3, first 2 shown]
	v_cvt_f32_f64_e32 v8, v[8:9]
	v_cvt_f32_f64_e32 v36, v[36:37]
	;; [unrolled: 1-line block ×6, first 2 shown]
	v_add_co_u32 v6, vcc_lo, v34, s0
	v_cvt_f32_f64_e32 v13, v[16:17]
	s_wait_alu 0xfffd
	v_add_co_ci_u32_e32 v7, vcc_lo, s1, v35, vcc_lo
	v_cvt_f32_f64_e32 v14, v[22:23]
	v_cvt_f32_f64_e32 v15, v[0:1]
	v_add_co_u32 v16, vcc_lo, v6, s0
	s_wait_alu 0xfffd
	v_add_co_ci_u32_e32 v17, vcc_lo, s1, v7, vcc_lo
	global_store_b64 v[6:7], v[36:37], off
	global_store_b64 v[16:17], v[4:5], off
	s_wait_loadcnt 0x0
	v_mul_f32_e32 v46, v51, v11
	v_mul_f32_e32 v47, v51, v10
	v_mul_f32_e32 v51, v106, v2
	s_delay_alu instid0(VALU_DEP_3) | instskip(NEXT) | instid1(VALU_DEP_3)
	v_fmac_f32_e32 v46, v50, v10
	v_fma_f32 v47, v50, v11, -v47
	v_mul_f32_e32 v50, v106, v3
	s_delay_alu instid0(VALU_DEP_4)
	v_fma_f32 v51, v105, v3, -v51
	v_cvt_f64_f32_e32 v[10:11], v45
	v_cvt_f64_f32_e32 v[44:45], v46
	;; [unrolled: 1-line block ×3, first 2 shown]
	v_fmac_f32_e32 v50, v105, v2
	v_cvt_f64_f32_e32 v[40:41], v51
	s_delay_alu instid0(VALU_DEP_2)
	v_cvt_f64_f32_e32 v[2:3], v50
	v_cvt_f64_f32_e32 v[50:51], v52
	;; [unrolled: 1-line block ×3, first 2 shown]
	v_mul_f64_e32 v[10:11], s[2:3], v[10:11]
	v_mul_f64_e32 v[18:19], s[2:3], v[44:45]
	;; [unrolled: 1-line block ×7, first 2 shown]
	v_cvt_f32_f64_e32 v9, v[10:11]
	v_cvt_f32_f64_e32 v10, v[18:19]
	;; [unrolled: 1-line block ×3, first 2 shown]
	v_add_co_u32 v18, vcc_lo, v16, s0
	v_cvt_f32_f64_e32 v1, v[38:39]
	s_wait_alu 0xfffd
	v_add_co_ci_u32_e32 v19, vcc_lo, s1, v17, vcc_lo
	v_cvt_f32_f64_e32 v0, v[2:3]
	v_cvt_f32_f64_e32 v2, v[40:41]
	;; [unrolled: 1-line block ×3, first 2 shown]
	v_add_co_u32 v20, vcc_lo, v18, s0
	s_wait_alu 0xfffd
	v_add_co_ci_u32_e32 v21, vcc_lo, s1, v19, vcc_lo
	global_store_b64 v[18:19], v[12:13], off
	v_add_co_u32 v22, vcc_lo, v20, s0
	s_wait_alu 0xfffd
	v_add_co_ci_u32_e32 v23, vcc_lo, s1, v21, vcc_lo
	s_delay_alu instid0(VALU_DEP_2) | instskip(SKIP_1) | instid1(VALU_DEP_2)
	v_add_co_u32 v6, vcc_lo, v22, s0
	s_wait_alu 0xfffd
	v_add_co_ci_u32_e32 v7, vcc_lo, s1, v23, vcc_lo
	s_delay_alu instid0(VALU_DEP_2) | instskip(SKIP_1) | instid1(VALU_DEP_2)
	;; [unrolled: 4-line block ×3, first 2 shown]
	v_add_co_u32 v12, vcc_lo, v4, s0
	s_wait_alu 0xfffd
	v_add_co_ci_u32_e32 v13, vcc_lo, s1, v5, vcc_lo
	global_store_b64 v[20:21], v[8:9], off
	global_store_b64 v[22:23], v[10:11], off
	;; [unrolled: 1-line block ×5, first 2 shown]
.LBB0_10:
	s_nop 0
	s_sendmsg sendmsg(MSG_DEALLOC_VGPRS)
	s_endpgm
	.section	.rodata,"a",@progbits
	.p2align	6, 0x0
	.amdhsa_kernel bluestein_single_fwd_len1445_dim1_sp_op_CI_CI
		.amdhsa_group_segment_fixed_size 11560
		.amdhsa_private_segment_fixed_size 68
		.amdhsa_kernarg_size 104
		.amdhsa_user_sgpr_count 2
		.amdhsa_user_sgpr_dispatch_ptr 0
		.amdhsa_user_sgpr_queue_ptr 0
		.amdhsa_user_sgpr_kernarg_segment_ptr 1
		.amdhsa_user_sgpr_dispatch_id 0
		.amdhsa_user_sgpr_private_segment_size 0
		.amdhsa_wavefront_size32 1
		.amdhsa_uses_dynamic_stack 0
		.amdhsa_enable_private_segment 1
		.amdhsa_system_sgpr_workgroup_id_x 1
		.amdhsa_system_sgpr_workgroup_id_y 0
		.amdhsa_system_sgpr_workgroup_id_z 0
		.amdhsa_system_sgpr_workgroup_info 0
		.amdhsa_system_vgpr_workitem_id 0
		.amdhsa_next_free_vgpr 256
		.amdhsa_next_free_sgpr 20
		.amdhsa_reserve_vcc 1
		.amdhsa_float_round_mode_32 0
		.amdhsa_float_round_mode_16_64 0
		.amdhsa_float_denorm_mode_32 3
		.amdhsa_float_denorm_mode_16_64 3
		.amdhsa_fp16_overflow 0
		.amdhsa_workgroup_processor_mode 1
		.amdhsa_memory_ordered 1
		.amdhsa_forward_progress 0
		.amdhsa_round_robin_scheduling 0
		.amdhsa_exception_fp_ieee_invalid_op 0
		.amdhsa_exception_fp_denorm_src 0
		.amdhsa_exception_fp_ieee_div_zero 0
		.amdhsa_exception_fp_ieee_overflow 0
		.amdhsa_exception_fp_ieee_underflow 0
		.amdhsa_exception_fp_ieee_inexact 0
		.amdhsa_exception_int_div_zero 0
	.end_amdhsa_kernel
	.text
.Lfunc_end0:
	.size	bluestein_single_fwd_len1445_dim1_sp_op_CI_CI, .Lfunc_end0-bluestein_single_fwd_len1445_dim1_sp_op_CI_CI
                                        ; -- End function
	.section	.AMDGPU.csdata,"",@progbits
; Kernel info:
; codeLenInByte = 31280
; NumSgprs: 22
; NumVgprs: 256
; ScratchSize: 68
; MemoryBound: 0
; FloatMode: 240
; IeeeMode: 1
; LDSByteSize: 11560 bytes/workgroup (compile time only)
; SGPRBlocks: 2
; VGPRBlocks: 31
; NumSGPRsForWavesPerEU: 22
; NumVGPRsForWavesPerEU: 256
; Occupancy: 5
; WaveLimiterHint : 1
; COMPUTE_PGM_RSRC2:SCRATCH_EN: 1
; COMPUTE_PGM_RSRC2:USER_SGPR: 2
; COMPUTE_PGM_RSRC2:TRAP_HANDLER: 0
; COMPUTE_PGM_RSRC2:TGID_X_EN: 1
; COMPUTE_PGM_RSRC2:TGID_Y_EN: 0
; COMPUTE_PGM_RSRC2:TGID_Z_EN: 0
; COMPUTE_PGM_RSRC2:TIDIG_COMP_CNT: 0
	.text
	.p2alignl 7, 3214868480
	.fill 96, 4, 3214868480
	.type	__hip_cuid_b62b67f8cca95f3,@object ; @__hip_cuid_b62b67f8cca95f3
	.section	.bss,"aw",@nobits
	.globl	__hip_cuid_b62b67f8cca95f3
__hip_cuid_b62b67f8cca95f3:
	.byte	0                               ; 0x0
	.size	__hip_cuid_b62b67f8cca95f3, 1

	.ident	"AMD clang version 19.0.0git (https://github.com/RadeonOpenCompute/llvm-project roc-6.4.0 25133 c7fe45cf4b819c5991fe208aaa96edf142730f1d)"
	.section	".note.GNU-stack","",@progbits
	.addrsig
	.addrsig_sym __hip_cuid_b62b67f8cca95f3
	.amdgpu_metadata
---
amdhsa.kernels:
  - .args:
      - .actual_access:  read_only
        .address_space:  global
        .offset:         0
        .size:           8
        .value_kind:     global_buffer
      - .actual_access:  read_only
        .address_space:  global
        .offset:         8
        .size:           8
        .value_kind:     global_buffer
      - .actual_access:  read_only
        .address_space:  global
        .offset:         16
        .size:           8
        .value_kind:     global_buffer
      - .actual_access:  read_only
        .address_space:  global
        .offset:         24
        .size:           8
        .value_kind:     global_buffer
      - .actual_access:  read_only
        .address_space:  global
        .offset:         32
        .size:           8
        .value_kind:     global_buffer
      - .offset:         40
        .size:           8
        .value_kind:     by_value
      - .address_space:  global
        .offset:         48
        .size:           8
        .value_kind:     global_buffer
      - .address_space:  global
        .offset:         56
        .size:           8
        .value_kind:     global_buffer
      - .address_space:  global
        .offset:         64
        .size:           8
        .value_kind:     global_buffer
      - .address_space:  global
        .offset:         72
        .size:           8
        .value_kind:     global_buffer
      - .offset:         80
        .size:           4
        .value_kind:     by_value
      - .address_space:  global
        .offset:         88
        .size:           8
        .value_kind:     global_buffer
      - .address_space:  global
        .offset:         96
        .size:           8
        .value_kind:     global_buffer
    .group_segment_fixed_size: 11560
    .kernarg_segment_align: 8
    .kernarg_segment_size: 104
    .language:       OpenCL C
    .language_version:
      - 2
      - 0
    .max_flat_workgroup_size: 85
    .name:           bluestein_single_fwd_len1445_dim1_sp_op_CI_CI
    .private_segment_fixed_size: 68
    .sgpr_count:     22
    .sgpr_spill_count: 0
    .symbol:         bluestein_single_fwd_len1445_dim1_sp_op_CI_CI.kd
    .uniform_work_group_size: 1
    .uses_dynamic_stack: false
    .vgpr_count:     256
    .vgpr_spill_count: 16
    .wavefront_size: 32
    .workgroup_processor_mode: 1
amdhsa.target:   amdgcn-amd-amdhsa--gfx1201
amdhsa.version:
  - 1
  - 2
...

	.end_amdgpu_metadata
